;; amdgpu-corpus repo=ROCm/aiter kind=harvested arch=n/a opt=n/a

/root/src/amdgpu-assembly/repos/ROCm__aiter/hsa/gfx942/fmha_v3_fwd/MI300/fwd_hd128_fp8_causal_group.co:	file format elf64-amdgpu

Disassembly of section .text:

0000000000003b00 <_ZN5aiter31fmha_fwd_hd128_fp8_causal_groupE>:
	s_and_b32 s1, s1, 0xffff                                   // 000000003B00: 8601FF01 0000FFFF
	s_load_dwordx2 s[20:21], s[0:1], 0x0                       // 000000003B08: C0060500 00000000
	s_load_dwordx2 s[8:9], s[0:1], 0x10                        // 000000003B10: C0060200 00000010
	s_load_dwordx2 s[12:13], s[0:1], 0x20                      // 000000003B18: C0060300 00000020
	s_load_dwordx2 s[16:17], s[0:1], 0x30                      // 000000003B20: C0060400 00000030
	s_load_dwordx2 s[24:25], s[0:1], 0x40                      // 000000003B28: C0060600 00000040
	s_load_dword s28, s[0:1], 0x50                             // 000000003B30: C0020700 00000050
	s_load_dword s29, s[0:1], 0x60                             // 000000003B38: C0020740 00000060
	s_load_dword s41, s[0:1], 0x70                             // 000000003B40: C0020A40 00000070
	s_load_dword s30, s[0:1], 0x80                             // 000000003B48: C0020780 00000080
	s_load_dword s77, s[0:1], 0x90                             // 000000003B50: C0021340 00000090
	s_load_dword s78, s[0:1], 0xa0                             // 000000003B58: C0021380 000000A0
	s_load_dword s79, s[0:1], 0xb0                             // 000000003B60: C00213C0 000000B0
	s_load_dword s40, s[0:1], 0xc0                             // 000000003B68: C0020A00 000000C0
	s_load_dword s80, s[0:1], 0xd0                             // 000000003B70: C0021400 000000D0
	s_load_dword s81, s[0:1], 0xe0                             // 000000003B78: C0021440 000000E0
	s_load_dword s31, s[0:1], 0xf0                             // 000000003B80: C00207C0 000000F0
	s_load_dword s33, s[0:1], 0x100                            // 000000003B88: C0020840 00000100
	s_load_dword s7, s[0:1], 0x110                             // 000000003B90: C00201C0 00000110
	s_load_dword s76, s[0:1], 0x140                            // 000000003B98: C0021300 00000140
	s_load_dword s43, s[0:1], 0x150                            // 000000003BA0: C0020AC0 00000150
	s_load_dword s67, s[0:1], 0x160                            // 000000003BA8: C00210C0 00000160
	s_load_dword s68, s[0:1], 0x170                            // 000000003BB0: C0021100 00000170
	s_load_dword s44, s[0:1], 0x180                            // 000000003BB8: C0020B00 00000180
	s_load_dword s69, s[0:1], 0x190                            // 000000003BC0: C0021140 00000190
	s_load_dword s70, s[0:1], 0x1a0                            // 000000003BC8: C0021180 000001A0
	s_load_dwordx2 s[50:51], s[0:1], 0x1b0                     // 000000003BD0: C0060C80 000001B0
	s_load_dwordx2 s[52:53], s[0:1], 0x1c0                     // 000000003BD8: C0060D00 000001C0
	s_load_dword s71, s[0:1], 0x1d0                            // 000000003BE0: C00211C0 000001D0
	s_load_dwordx2 s[54:55], s[0:1], 0x1e0                     // 000000003BE8: C0060D80 000001E0
	s_load_dwordx2 s[56:57], s[0:1], 0x1f0                     // 000000003BF0: C0060E00 000001F0
	s_load_dwordx2 s[58:59], s[0:1], 0x200                     // 000000003BF8: C0060E80 00000200
	s_load_dwordx2 s[60:61], s[0:1], 0x210                     // 000000003C00: C0060F00 00000210
	s_load_dwordx2 s[62:63], s[0:1], 0x220                     // 000000003C08: C0060F80 00000220
	s_load_dword s82, s[0:1], 0x230                            // 000000003C10: C0021480 00000230
	s_load_dword s83, s[0:1], 0x240                            // 000000003C18: C00214C0 00000240
	s_load_dword s84, s[0:1], 0x250                            // 000000003C20: C0021500 00000250
	s_load_dword s85, s[0:1], 0x260                            // 000000003C28: C0021540 00000260
	s_load_dword s86, s[0:1], 0x270                            // 000000003C30: C0021580 00000270
	s_load_dword s87, s[0:1], 0x280                            // 000000003C38: C00215C0 00000280
	v_lshrrev_b32_e32 v1, 10, v0                               // 000000003C40: 2002008A
	v_lshrrev_b32_e32 v2, 10, v1                               // 000000003C44: 2004028A
	v_and_b32_e32 v2, 0x3ff, v2                                // 000000003C48: 260404FF 000003FF
	v_and_b32_e32 v1, 0x3ff, v1                                // 000000003C50: 260202FF 000003FF
	v_and_b32_e32 v0, 0x3ff, v0                                // 000000003C58: 260000FF 000003FF
	v_lshrrev_b32_e32 v3, 6, v0                                // 000000003C60: 20060086
	v_and_b32_e32 v0, 63, v0                                   // 000000003C64: 260000BF
	s_mov_b32 s2, s2                                           // 000000003C68: BE820002
	s_mov_b32 s3, s3                                           // 000000003C6C: BE830003
	s_mov_b32 s4, s4                                           // 000000003C70: BE840004
	v_readfirstlane_b32 s5, v3                                 // 000000003C74: 7E0A0503
	s_waitcnt lgkmcnt(0)                                       // 000000003C78: BF8CC07F
	s_and_b32 s31, s31, 1                                      // 000000003C7C: 861F811F
	s_nop 1                                                    // 000000003C80: BF800001
	s_and_b32 s51, s51, 0xffff                                 // 000000003C84: 8633FF33 0000FFFF
	s_and_b32 s53, s53, 0xffff                                 // 000000003C8C: 8635FF35 0000FFFF
	s_and_b32 s55, s55, 0xffff                                 // 000000003C94: 8637FF37 0000FFFF
	s_and_b32 s57, s57, 0xffff                                 // 000000003C9C: 8639FF39 0000FFFF
	s_mul_i32 s34, s3, 4                                       // 000000003CA4: 92228403
	s_load_dword s72, s[54:55], s34                            // 000000003CA8: C000121B 00000022
	s_load_dword s73, s[56:57], s34                            // 000000003CB0: C000125C 00000022
	s_load_dword s35, s[50:51], s34                            // 000000003CB8: C00008D9 00000022
	s_load_dword s36, s[52:53], s34                            // 000000003CC0: C000091A 00000022
	s_add_u32 s34, s34, 4                                      // 000000003CC8: 80228422
	s_load_dword s74, s[50:51], s34                            // 000000003CCC: C0001299 00000022
	s_load_dword s75, s[52:53], s34                            // 000000003CD4: C00012DA 00000022
	s_waitcnt lgkmcnt(0)                                       // 000000003CDC: BF8CC07F
	s_sub_u32 s29, s74, s35                                    // 000000003CE0: 809D234A
	s_sub_u32 s7, s75, s36                                     // 000000003CE4: 8087244B
	s_nop 0                                                    // 000000003CE8: BF800000
	s_lshr_b32 s34, s31, 1                                     // 000000003CEC: 8F22811F
	s_and_b32 s34, 3, s34                                      // 000000003CF0: 86222283
	s_cmp_lt_u32 s34, 1                                        // 000000003CF4: BF0A8122
	s_cbranch_scc1 label_009B                                  // 000000003CF8: BF85001C
	s_add_u32 s35, s29, 0xff                                   // 000000003CFC: 8023FF1D 000000FF
	s_lshr_b32 s35, s35, 8                                     // 000000003D04: 8F238823
	s_add_u32 s35, s35, 1                                      // 000000003D08: 80238123
	s_lshr_b32 s6, s35, 1                                      // 000000003D0C: 8F068123
	s_cmp_eq_u32 s34, 2                                        // 000000003D10: BF068222
	s_cbranch_scc1 label_008E                                  // 000000003D14: BF850008
	s_lshr_b32 s35, s6, 3                                      // 000000003D18: 8F238306
	s_lshr_b32 s36, s4, 3                                      // 000000003D1C: 8F248304
	s_and_b32 s34, s4, 7                                       // 000000003D20: 86228704
	s_mul_i32 s34, s34, s35                                    // 000000003D24: 92222322
	s_add_u32 s34, s36, s34                                    // 000000003D28: 80222224
	s_cmp_lt_i32 s36, s35                                      // 000000003D2C: BF042324
	s_cselect_b32 s4, s34, s4                                  // 000000003D30: 85040422
	s_branch label_009B                                        // 000000003D34: BF82000D

0000000000003d38 <label_008E>:
	s_and_b32 s34, s2, 7                                       // 000000003D38: 86228702
	s_mul_i32 s34, s34, s6                                     // 000000003D3C: 92220622
	s_add_u32 s34, s34, s4                                     // 000000003D40: 80220422
	s_and_b32 s35, s34, 7                                      // 000000003D44: 86238722
	s_lshr_b32 s4, s34, 3                                      // 000000003D48: 8F048322
	s_and_b32 s2, s2, -8                                       // 000000003D4C: 8602C802
	s_add_u32 s2, s2, s35                                      // 000000003D50: 80022302
	s_nop 0                                                    // 000000003D54: BF800000
	s_nop 0                                                    // 000000003D58: BF800000
	s_nop 0                                                    // 000000003D5C: BF800000
	s_nop 0                                                    // 000000003D60: BF800000
	s_nop 0                                                    // 000000003D64: BF800000
	s_nop 0                                                    // 000000003D68: BF800000

0000000000003d6c <label_009B>:
	s_add_i32 s34, s29, 0xff                                   // 000000003D6C: 8122FF1D 000000FF
	s_lshr_b32 s34, s34, 8                                     // 000000003D74: 8F228822
	s_addk_i32 s34, 0x1                                        // 000000003D78: B7220001
	s_lshr_b32 s34, s34, 1                                     // 000000003D7C: 8F228122
	s_cmp_lt_i32 s4, s34                                       // 000000003D80: BF042204
	s_cbranch_scc0 label_15BD                                  // 000000003D84: BF84151B
	s_mul_i32 s34, s29, s41                                    // 000000003D88: 9222291D
	s_mov_b32 s10, s34                                         // 000000003D8C: BE8A0022
	s_mul_i32 s34, s29, s44                                    // 000000003D90: 92222C1D
	s_mov_b32 s22, s34                                         // 000000003D94: BE960022
	s_mul_i32 s34, s7, s40                                     // 000000003D98: 92222807
	s_mov_b32 s14, s34                                         // 000000003D9C: BE8E0022
	s_mul_i32 s34, s7, s43                                     // 000000003DA0: 92222B07
	s_mov_b32 s18, s34                                         // 000000003DA4: BE920022
	s_mul_i32 s34, s29, 4                                      // 000000003DA8: 9222841D
	s_mov_b32 s26, s34                                         // 000000003DAC: BE9A0022
	s_mov_b32 s23, 0x20000                                     // 000000003DB0: BE9700FF 00020000
	s_mov_b32 s11, 0x20000                                     // 000000003DB8: BE8B00FF 00020000
	s_mov_b32 s15, 0x20000                                     // 000000003DC0: BE8F00FF 00020000
	s_mov_b32 s19, 0x20000                                     // 000000003DC8: BE9300FF 00020000
	s_mov_b32 s27, 0x20000                                     // 000000003DD0: BE9B00FF 00020000
	s_and_b32 s21, s21, 0xffff                                 // 000000003DD8: 8615FF15 0000FFFF
	s_and_b32 s9, s9, 0xffff                                   // 000000003DE0: 8609FF09 0000FFFF
	s_and_b32 s13, s13, 0xffff                                 // 000000003DE8: 860DFF0D 0000FFFF
	s_and_b32 s17, s17, 0xffff                                 // 000000003DF0: 8611FF11 0000FFFF
	s_and_b32 s25, s25, 0xffff                                 // 000000003DF8: 8619FF19 0000FFFF
	s_nop 0                                                    // 000000003E00: BF800000
	s_nop 0                                                    // 000000003E04: BF800000
	s_mov_b32 s64, s2                                          // 000000003E08: BEC00002
	s_mov_b32 s65, s79                                         // 000000003E0C: BEC1004F
	v_cvt_f32_u32_e32 v16, s65                                 // 000000003E10: 7E200C41
	s_sub_i32 s34, 0, s65                                      // 000000003E14: 81A24180
	v_rcp_iflag_f32_e32 v16, v16                               // 000000003E18: 7E204710
	s_nop 0                                                    // 000000003E1C: BF800000
	v_mul_f32_e32 v16, 0x4f7ffffe, v16                         // 000000003E20: 0A2020FF 4F7FFFFE
	v_cvt_u32_f32_e32 v16, v16                                 // 000000003E28: 7E200F10
	v_mul_lo_u32 v17, s34, v16                                 // 000000003E2C: D2850011 00022022
	v_mul_hi_u32 v17, v16, v17                                 // 000000003E34: D2860011 00022310
	v_add_u32_e32 v16, v16, v17                                // 000000003E3C: 68202310
	v_mul_hi_u32 v16, s64, v16                                 // 000000003E40: D2860010 00022040
	v_mul_lo_u32 v17, v16, s65                                 // 000000003E48: D2850011 00008310
	v_sub_u32_e32 v19, s64, v17                                // 000000003E50: 6A262240
	v_add_u32_e32 v18, 1, v16                                  // 000000003E54: 68242081
	v_cmp_le_u32_e32 vcc, s65, v19                             // 000000003E58: 7D962641
	v_subrev_u32_e32 v17, s65, v19                             // 000000003E5C: 6C222641
	s_nop 0                                                    // 000000003E60: BF800000
	v_cndmask_b32_e32 v16, v16, v18, vcc                       // 000000003E64: 00202510
	v_cndmask_b32_e32 v19, v19, v17, vcc                       // 000000003E68: 00262313
	v_add_u32_e32 v17, 1, v16                                  // 000000003E6C: 68222081
	v_cmp_le_u32_e32 vcc, s65, v19                             // 000000003E70: 7D962641
	s_nop 1                                                    // 000000003E74: BF800001
	v_cndmask_b32_e32 v19, v16, v17, vcc                       // 000000003E78: 00262310
	s_nop 3                                                    // 000000003E7C: BF800003
	v_readfirstlane_b32 s66, v19                               // 000000003E80: 7E840513
	s_nop 3                                                    // 000000003E84: BF800003
	v_mov_b32_e32 v41, 0xffff0000                              // 000000003E88: 7E5202FF FFFF0000
	v_mov_b32_e32 v42, 0x7fff0000                              // 000000003E90: 7E5402FF 7FFF0000
	v_mov_b32_e32 v43, 0x7fff                                  // 000000003E98: 7E5602FF 00007FFF
	v_lshrrev_b32_e32 v16, 5, v0                               // 000000003EA0: 20200085
	v_sub_u32_e32 v16, 1, v16                                  // 000000003EA4: 6A202081
	v_mul_i32_i24_e32 v32, 0x80, v16                           // 000000003EA8: 0C4020FF 00000080
	v_and_b32_e32 v16, 31, v0                                  // 000000003EB0: 2620009F
	v_mul_i32_i24_e32 v16, 4, v16                              // 000000003EB4: 0C202084
	v_add_u32_e32 v32, v16, v32                                // 000000003EB8: 68404110
	s_mul_i32 s34, s72, s41                                    // 000000003EBC: 92222948
	s_mul_hi_u32 s36, s72, s41                                 // 000000003EC0: 96242948
	s_and_b32 s36, s36, 0xffff                                 // 000000003EC4: 8624FF24 0000FFFF
	s_mul_i32 s35, s2, s77                                     // 000000003ECC: 92234D02
	s_add_u32 s34, s34, s35                                    // 000000003ED0: 80222322
	s_add_u32 s8, s34, s8                                      // 000000003ED4: 80080822
	s_addc_u32 s9, s36, s9                                     // 000000003ED8: 82090924
	s_mul_i32 s34, s72, s44                                    // 000000003EDC: 92222C48
	s_mul_hi_u32 s36, s72, s44                                 // 000000003EE0: 96242C48
	s_and_b32 s36, s36, 0xffff                                 // 000000003EE4: 8624FF24 0000FFFF
	s_mul_i32 s35, s2, s69                                     // 000000003EEC: 92234502
	s_add_u32 s34, s34, s35                                    // 000000003EF0: 80222322
	s_add_u32 s20, s34, s20                                    // 000000003EF4: 80141422
	s_addc_u32 s21, s36, s21                                   // 000000003EF8: 82151524
	s_mul_i32 s34, s2, s71                                     // 000000003EFC: 92224702
	s_mul_i32 s35, s72, 4                                      // 000000003F00: 92238448
	s_add_i32 s34, s34, s35                                    // 000000003F04: 81222322
	s_add_u32 s24, s34, s24                                    // 000000003F08: 80181822
	s_addc_u32 s25, 0, s25                                     // 000000003F0C: 82191980
	s_mul_i32 s34, s73, s40                                    // 000000003F10: 92222849
	s_mul_hi_u32 s36, s73, s40                                 // 000000003F14: 96242849
	s_and_b32 s36, s36, 0xffff                                 // 000000003F18: 8624FF24 0000FFFF
	s_mul_i32 s35, s66, s80                                    // 000000003F20: 92235042
	s_add_u32 s34, s34, s35                                    // 000000003F24: 80222322
	s_add_u32 s12, s34, s12                                    // 000000003F28: 800C0C22
	s_addc_u32 s13, s36, s13                                   // 000000003F2C: 820D0D24
	s_mul_i32 s34, s73, s43                                    // 000000003F30: 92222B49
	s_mul_hi_u32 s36, s73, s43                                 // 000000003F34: 96242B49
	s_and_b32 s36, s36, 0xffff                                 // 000000003F38: 8624FF24 0000FFFF
	s_mul_i32 s35, s66, s67                                    // 000000003F40: 92234342
	s_add_u32 s34, s34, s35                                    // 000000003F44: 80222322
	s_add_u32 s16, s34, s16                                    // 000000003F48: 80101022
	s_addc_u32 s17, s36, s17                                   // 000000003F4C: 82111124
	s_and_b32 s59, s59, 0xffff                                 // 000000003F50: 863BFF3B 0000FFFF
	s_and_b32 s61, s61, 0xffff                                 // 000000003F58: 863DFF3D 0000FFFF
	s_and_b32 s63, s63, 0xffff                                 // 000000003F60: 863FFF3F 0000FFFF
	s_mul_i32 s34, s3, s82                                     // 000000003F68: 92225203
	s_mul_i32 s35, s66, s83                                    // 000000003F6C: 92235342
	s_add_u32 s34, s35, s34                                    // 000000003F70: 80222223
	s_load_dword s37, s[58:59], s34                            // 000000003F74: C000095D 00000022
	s_mul_i32 s34, s3, s84                                     // 000000003F7C: 92225403
	s_mul_i32 s35, s66, s85                                    // 000000003F80: 92235542
	s_add_u32 s34, s35, s34                                    // 000000003F84: 80222223
	s_load_dword s38, s[60:61], s34                            // 000000003F88: C000099E 00000022
	s_mul_i32 s34, s3, s86                                     // 000000003F90: 92225603
	s_mul_i32 s35, s66, s87                                    // 000000003F94: 92235742
	s_add_u32 s34, s35, s34                                    // 000000003F98: 80222223
	s_load_dword s39, s[62:63], s34                            // 000000003F9C: C00009DF 00000022
	s_waitcnt lgkmcnt(0)                                       // 000000003FA4: BF8CC07F
	s_mov_b32 s72, 0                                           // 000000003FA8: BEC80080
	s_mov_b32 s73, 64                                          // 000000003FAC: BEC900C0
	s_mov_b32 s60, 0                                           // 000000003FB0: BEBC0080
	s_mov_b32 s61, 0x3fb8aa3b                                  // 000000003FB4: BEBD00FF 3FB8AA3B
	v_mov_b32_e32 v31, 0xff800000                              // 000000003FBC: 7E3E02FF FF800000
	s_mov_b32 s56, 0                                           // 000000003FC4: BEB80080
	s_mov_b32 s57, 0                                           // 000000003FC8: BEB90080
	s_mov_b32 s32, 0                                           // 000000003FCC: BEA00080
	s_mul_i32 s64, 64, s40                                     // 000000003FD0: 924028C0
	s_mul_i32 s65, 64, s43                                     // 000000003FD4: 92412BC0
	s_lshr_b32 s76, s7, 6                                      // 000000003FD8: 8F4C8607
	s_lshl_b32 s76, s76, 6                                     // 000000003FDC: 8E4C864C
	s_mov_b32 s67, 0x7060302                                   // 000000003FE0: BEC300FF 07060302
	s_mov_b32 s68, 0x5040100                                   // 000000003FE8: BEC400FF 05040100
	s_mov_b32 s69, 0x5010400                                   // 000000003FF0: BEC500FF 05010400
	s_mov_b32 s70, 0x7030602                                   // 000000003FF8: BEC600FF 07030602
	v_lshrrev_b32_e32 v16, 5, v0                               // 000000004000: 20200085
	v_mul_i32_i24_e32 v30, 4, v16                              // 000000004004: 0C3C2084

0000000000004008 <label_0142>:
	s_add_u32 s62, s4, 1                                       // 000000004008: 803E8104
	s_lshl_b32 s62, s62, 8                                     // 00000000400C: 8E3E883E
	s_lshl_b32 s71, s4, 8                                      // 000000004010: 8E478804
	s_sub_i32 s34, s7, s29                                     // 000000004014: 81A21D07
	s_add_i32 s71, s71, s34                                    // 000000004018: 81472247
	s_ashr_i32 s71, s71, 6                                     // 00000000401C: 90478647
	s_lshl_b32 s71, s71, 6                                     // 000000004020: 8E478647
	s_add_i32 s62, s62, s34                                    // 000000004024: 813E223E
	s_cmp_lt_i32 s62, s7                                       // 000000004028: BF04073E
	s_cselect_b32 s62, s62, s7                                 // 00000000402C: 853E073E
	s_cmp_lt_i32 s62, 64                                       // 000000004030: BF04C03E
	s_cselect_b32 s62, 64, s62                                 // 000000004034: 853E3EC0
	s_nop 0                                                    // 000000004038: BF800000
	s_nop 0                                                    // 00000000403C: BF800000
	s_mul_i32 s34, s5, 32                                      // 000000004040: 9222A005
	v_lshrrev_b32_e32 v16, 5, v0                               // 000000004044: 20200085
	v_mul_i32_i24_e32 v16, 4, v16                              // 000000004048: 0C202084
	v_and_b32_e32 v29, 31, v0                                  // 00000000404C: 263A009F
	v_sub_i32 v29, v29, v16                                    // 000000004050: D29D001D 0002211D
	s_nop 0                                                    // 000000004058: BF800000
	v_add_i32 v29, v29, s34                                    // 00000000405C: D29C001D 0000451D
	s_mov_b32 s63, 0                                           // 000000004064: BEBF0080
	v_mov_b32_e32 v17, s61                                     // 000000004068: 7E22023D
	v_mov_b32_e32 v16, s28                                     // 00000000406C: 7E20021C
	v_mul_f32_e32 v16, s61, v16                                // 000000004070: 0A20203D
	v_rcp_f32_e32 v17, v17                                     // 000000004074: 7E224511
	v_mov_b32_e32 v22, 0                                       // 000000004078: 7E2C0280
	v_mov_b32_e32 v28, 0xff7fffff                              // 00000000407C: 7E3802FF FF7FFFFF
	v_mov_b32_e32 v20, 0                                       // 000000004084: 7E280280
	v_mov_b32_e32 v22, 0                                       // 000000004088: 7E2C0280
	v_readfirstlane_b32 s74, v16                               // 00000000408C: 7E940510
	v_readfirstlane_b32 s66, v17                               // 000000004090: 7E840511
	s_waitcnt lgkmcnt(0)                                       // 000000004094: BF8CC07F
	v_mov_b32_e32 v16, s37                                     // 000000004098: 7E200225
	v_mul_f32_e32 v16, s38, v16                                // 00000000409C: 0A202026
	v_mul_f32_e32 v17, s74, v16                                // 0000000040A0: 0A22204A
	v_mul_f32_e32 v19, s28, v16                                // 0000000040A4: 0A26201C
	v_readfirstlane_b32 s74, v17                               // 0000000040A8: 7E940511
	v_readfirstlane_b32 s28, v19                               // 0000000040AC: 7E380513
	v_rcp_f32_e32 v16, v16                                     // 0000000040B0: 7E204510
	s_nop 1                                                    // 0000000040B4: BF800001
	v_mul_f32_e32 v16, v28, v16                                // 0000000040B8: 0A20211C
	v_max_f32_e32 v28, v28, v16                                // 0000000040BC: 1638211C
	s_mul_i32 s42, s4, s30                                     // 0000000040C0: 922A1E04
	v_and_b32_e32 v16, 31, v0                                  // 0000000040C4: 2620009F
	v_lshlrev_b32_e32 v8, 2, v16                               // 0000000040C8: 24102082
	v_lshrrev_b32_e32 v16, 5, v0                               // 0000000040CC: 20200085
	s_mul_i32 s34, 16, s41                                     // 0000000040D0: 92222990
	v_mul_i32_i24_e32 v16, s34, v16                            // 0000000040D4: 0C202022
	v_add_u32_e32 v8, v8, v16                                  // 0000000040D8: 68102108
	s_mul_i32 s34, s5, s41                                     // 0000000040DC: 92222905
	v_add_u32_e32 v8, s34, v8                                  // 0000000040E0: 68101022
	s_mul_i32 s35, 8, s41                                      // 0000000040E4: 92232988
	v_add_u32_e32 v9, s35, v8                                  // 0000000040E8: 68121023
	v_add_u32_e32 v8, s42, v8                                  // 0000000040EC: 6810102A
	v_add_u32_e32 v9, s42, v9                                  // 0000000040F0: 6812122A
	s_mul_i32 s34, s5, 0x110                                   // 0000000040F4: 9222FF05 00000110
	s_add_u32 s55, 0x4400, s34                                 // 0000000040FC: 803722FF 00004400
	s_mov_b32 s75, s74                                         // 000000004104: BECB004A
	s_mov_b32 s34, 0                                           // 000000004108: BEA20080
	s_add_u32 m0, s34, s55                                     // 00000000410C: 807C3722
	s_mul_i32 s34, 0, s41                                      // 000000004110: 92222980
	v_add_u32_e32 v4, s34, v8                                  // 000000004114: 68081022
	v_add_u32_e32 v5, s34, v9                                  // 000000004118: 680A1222
	buffer_load_dword v4, s[8:11], s56 offen lds               // 00000000411C: E0511000 38020004
	s_add_u32 m0, 0x880, m0                                    // 000000004124: 807C7CFF 00000880
	buffer_load_dword v5, s[8:11], s56 offen lds               // 00000000412C: E0511000 38020005
	s_add_u32 m0, 0x880, m0                                    // 000000004134: 807C7CFF 00000880
	s_mov_b32 s34, 0x1100                                      // 00000000413C: BEA200FF 00001100
	s_add_u32 m0, s34, s55                                     // 000000004144: 807C3722
	s_mul_i32 s34, 32, s41                                     // 000000004148: 922229A0
	v_add_u32_e32 v4, s34, v8                                  // 00000000414C: 68081022
	v_add_u32_e32 v5, s34, v9                                  // 000000004150: 680A1222
	buffer_load_dword v4, s[8:11], s56 offen lds               // 000000004154: E0511000 38020004
	s_add_u32 m0, 0x880, m0                                    // 00000000415C: 807C7CFF 00000880
	buffer_load_dword v5, s[8:11], s56 offen lds               // 000000004164: E0511000 38020005
	s_add_u32 m0, 0x880, m0                                    // 00000000416C: 807C7CFF 00000880
	s_mov_b32 s34, 0x2200                                      // 000000004174: BEA200FF 00002200
	s_add_u32 m0, s34, s55                                     // 00000000417C: 807C3722
	s_mul_i32 s34, 64, s41                                     // 000000004180: 922229C0
	v_add_u32_e32 v4, s34, v8                                  // 000000004184: 68081022
	v_add_u32_e32 v5, s34, v9                                  // 000000004188: 680A1222
	buffer_load_dword v4, s[8:11], s56 offen lds               // 00000000418C: E0511000 38020004
	s_add_u32 m0, 0x880, m0                                    // 000000004194: 807C7CFF 00000880
	buffer_load_dword v5, s[8:11], s56 offen lds               // 00000000419C: E0511000 38020005
	s_add_u32 m0, 0x880, m0                                    // 0000000041A4: 807C7CFF 00000880
	s_mov_b32 s34, 0x3300                                      // 0000000041AC: BEA200FF 00003300
	s_add_u32 m0, s34, s55                                     // 0000000041B4: 807C3722
	s_mul_i32 s34, 0x60, s41                                   // 0000000041B8: 922229FF 00000060
	v_add_u32_e32 v4, s34, v8                                  // 0000000041C0: 68081022
	v_add_u32_e32 v5, s34, v9                                  // 0000000041C4: 680A1222
	buffer_load_dword v4, s[8:11], s56 offen lds               // 0000000041C8: E0511000 38020004
	s_add_u32 m0, 0x880, m0                                    // 0000000041D0: 807C7CFF 00000880
	buffer_load_dword v5, s[8:11], s56 offen lds               // 0000000041D8: E0511000 38020005
	s_add_u32 m0, 0x880, m0                                    // 0000000041E0: 807C7CFF 00000880
	v_mov_b32_e32 v112, 0                                      // 0000000041E8: 7EE00280
	v_mov_b32_e32 v113, 0                                      // 0000000041EC: 7EE20280
	v_mov_b32_e32 v114, 0                                      // 0000000041F0: 7EE40280
	v_mov_b32_e32 v115, 0                                      // 0000000041F4: 7EE60280
	v_mov_b32_e32 v116, 0                                      // 0000000041F8: 7EE80280
	v_mov_b32_e32 v117, 0                                      // 0000000041FC: 7EEA0280
	v_mov_b32_e32 v118, 0                                      // 000000004200: 7EEC0280
	v_mov_b32_e32 v119, 0                                      // 000000004204: 7EEE0280
	v_mov_b32_e32 v120, 0                                      // 000000004208: 7EF00280
	v_mov_b32_e32 v121, 0                                      // 00000000420C: 7EF20280
	v_mov_b32_e32 v122, 0                                      // 000000004210: 7EF40280
	v_mov_b32_e32 v123, 0                                      // 000000004214: 7EF60280
	v_mov_b32_e32 v124, 0                                      // 000000004218: 7EF80280
	v_mov_b32_e32 v125, 0                                      // 00000000421C: 7EFA0280
	v_mov_b32_e32 v126, 0                                      // 000000004220: 7EFC0280
	v_mov_b32_e32 v127, 0                                      // 000000004224: 7EFE0280
	v_mov_b32_e32 v128, 0                                      // 000000004228: 7F000280
	v_mov_b32_e32 v129, 0                                      // 00000000422C: 7F020280
	v_mov_b32_e32 v130, 0                                      // 000000004230: 7F040280
	v_mov_b32_e32 v131, 0                                      // 000000004234: 7F060280
	v_mov_b32_e32 v132, 0                                      // 000000004238: 7F080280
	v_mov_b32_e32 v133, 0                                      // 00000000423C: 7F0A0280
	v_mov_b32_e32 v134, 0                                      // 000000004240: 7F0C0280
	v_mov_b32_e32 v135, 0                                      // 000000004244: 7F0E0280
	v_mov_b32_e32 v136, 0                                      // 000000004248: 7F100280
	v_mov_b32_e32 v137, 0                                      // 00000000424C: 7F120280
	v_mov_b32_e32 v138, 0                                      // 000000004250: 7F140280
	v_mov_b32_e32 v139, 0                                      // 000000004254: 7F160280
	v_mov_b32_e32 v140, 0                                      // 000000004258: 7F180280
	v_mov_b32_e32 v141, 0                                      // 00000000425C: 7F1A0280
	v_mov_b32_e32 v142, 0                                      // 000000004260: 7F1C0280
	v_mov_b32_e32 v143, 0                                      // 000000004264: 7F1E0280
	v_lshrrev_b32_e32 v16, 5, v0                               // 000000004268: 20200085
	v_mul_i32_i24_e32 v17, 4, v16                              // 00000000426C: 0C222084
	v_and_b32_e32 v16, 15, v0                                  // 000000004270: 2620008F
	v_mul_i32_i24_e32 v2, 0x44, v16                            // 000000004274: 0C0420FF 00000044
	v_add_u32_e32 v2, v2, v17                                  // 00000000427C: 68042302
	v_and_b32_e32 v16, 31, v0                                  // 000000004280: 2620009F
	v_lshrrev_b32_e32 v17, 4, v16                              // 000000004284: 20222084
	v_lshlrev_b32_e32 v16, 5, v17                              // 000000004288: 24202285
	v_add_u32_e32 v2, v2, v16                                  // 00000000428C: 68042102
	v_lshlrev_b32_e32 v2, 2, v2                                // 000000004290: 24040482
	s_and_b32 s34, 3, s5                                       // 000000004294: 86220583
	s_mul_i32 s34, s34, 0x1100                                 // 000000004298: 9222FF22 00001100
	v_add_u32_e32 v2, s34, v2                                  // 0000000042A0: 68040422
	s_waitcnt vmcnt(0) expcnt(0) lgkmcnt(0)                    // 0000000042A4: BF8C0000
	s_barrier                                                  // 0000000042A8: BF8A0000
	s_cmp_lt_i32 s5, 4                                         // 0000000042AC: BF048405
	s_cbranch_scc0 label_01F5                                  // 0000000042B0: BF840008
	ds_read_b128 v[176:179], v2 offset:17408                   // 0000000042B4: D9FE4400 B0000002
	ds_read_b128 v[180:183], v2 offset:17440                   // 0000000042BC: D9FE4420 B4000002
	ds_read_b128 v[184:187], v2 offset:17472                   // 0000000042C4: D9FE4440 B8000002
	ds_read_b128 v[188:191], v2 offset:17504                   // 0000000042CC: D9FE4460 BC000002

00000000000042d4 <label_01F5>:
	s_waitcnt vmcnt(0) expcnt(0) lgkmcnt(0)                    // 0000000042D4: BF8C0000
	s_barrier                                                  // 0000000042D8: BF8A0000
	s_mov_b32 s34, 0                                           // 0000000042DC: BEA20080
	s_add_u32 m0, s34, s55                                     // 0000000042E0: 807C3722
	s_mul_i32 s34, 0x80, s41                                   // 0000000042E4: 922229FF 00000080
	v_add_u32_e32 v4, s34, v8                                  // 0000000042EC: 68081022
	v_add_u32_e32 v5, s34, v9                                  // 0000000042F0: 680A1222
	buffer_load_dword v4, s[8:11], s56 offen lds               // 0000000042F4: E0511000 38020004
	s_add_u32 m0, 0x880, m0                                    // 0000000042FC: 807C7CFF 00000880
	buffer_load_dword v5, s[8:11], s56 offen lds               // 000000004304: E0511000 38020005
	s_add_u32 m0, 0x880, m0                                    // 00000000430C: 807C7CFF 00000880
	s_mov_b32 s34, 0x1100                                      // 000000004314: BEA200FF 00001100
	s_add_u32 m0, s34, s55                                     // 00000000431C: 807C3722
	s_mul_i32 s34, 0xa0, s41                                   // 000000004320: 922229FF 000000A0
	v_add_u32_e32 v4, s34, v8                                  // 000000004328: 68081022
	v_add_u32_e32 v5, s34, v9                                  // 00000000432C: 680A1222
	buffer_load_dword v4, s[8:11], s56 offen lds               // 000000004330: E0511000 38020004
	s_add_u32 m0, 0x880, m0                                    // 000000004338: 807C7CFF 00000880
	buffer_load_dword v5, s[8:11], s56 offen lds               // 000000004340: E0511000 38020005
	s_add_u32 m0, 0x880, m0                                    // 000000004348: 807C7CFF 00000880
	s_mov_b32 s34, 0x2200                                      // 000000004350: BEA200FF 00002200
	s_add_u32 m0, s34, s55                                     // 000000004358: 807C3722
	s_mul_i32 s34, 0xc0, s41                                   // 00000000435C: 922229FF 000000C0
	v_add_u32_e32 v4, s34, v8                                  // 000000004364: 68081022
	v_add_u32_e32 v5, s34, v9                                  // 000000004368: 680A1222
	buffer_load_dword v4, s[8:11], s56 offen lds               // 00000000436C: E0511000 38020004
	s_add_u32 m0, 0x880, m0                                    // 000000004374: 807C7CFF 00000880
	buffer_load_dword v5, s[8:11], s56 offen lds               // 00000000437C: E0511000 38020005
	s_add_u32 m0, 0x880, m0                                    // 000000004384: 807C7CFF 00000880
	s_mov_b32 s34, 0x3300                                      // 00000000438C: BEA200FF 00003300
	s_add_u32 m0, s34, s55                                     // 000000004394: 807C3722
	s_mul_i32 s34, 0xe0, s41                                   // 000000004398: 922229FF 000000E0
	v_add_u32_e32 v4, s34, v8                                  // 0000000043A0: 68081022
	v_add_u32_e32 v5, s34, v9                                  // 0000000043A4: 680A1222
	buffer_load_dword v4, s[8:11], s56 offen lds               // 0000000043A8: E0511000 38020004
	s_add_u32 m0, 0x880, m0                                    // 0000000043B0: 807C7CFF 00000880
	buffer_load_dword v5, s[8:11], s56 offen lds               // 0000000043B8: E0511000 38020005
	s_add_u32 m0, 0x880, m0                                    // 0000000043C0: 807C7CFF 00000880
	v_mov_b32_e32 v144, 0                                      // 0000000043C8: 7F200280
	v_mov_b32_e32 v145, 0                                      // 0000000043CC: 7F220280
	v_mov_b32_e32 v146, 0                                      // 0000000043D0: 7F240280
	v_mov_b32_e32 v147, 0                                      // 0000000043D4: 7F260280
	v_mov_b32_e32 v148, 0                                      // 0000000043D8: 7F280280
	v_mov_b32_e32 v149, 0                                      // 0000000043DC: 7F2A0280
	v_mov_b32_e32 v150, 0                                      // 0000000043E0: 7F2C0280
	v_mov_b32_e32 v151, 0                                      // 0000000043E4: 7F2E0280
	v_mov_b32_e32 v152, 0                                      // 0000000043E8: 7F300280
	v_mov_b32_e32 v153, 0                                      // 0000000043EC: 7F320280
	v_mov_b32_e32 v154, 0                                      // 0000000043F0: 7F340280
	v_mov_b32_e32 v155, 0                                      // 0000000043F4: 7F360280
	v_mov_b32_e32 v156, 0                                      // 0000000043F8: 7F380280
	v_mov_b32_e32 v157, 0                                      // 0000000043FC: 7F3A0280
	v_mov_b32_e32 v158, 0                                      // 000000004400: 7F3C0280
	v_mov_b32_e32 v159, 0                                      // 000000004404: 7F3E0280
	v_mov_b32_e32 v160, 0                                      // 000000004408: 7F400280
	v_mov_b32_e32 v161, 0                                      // 00000000440C: 7F420280
	v_mov_b32_e32 v162, 0                                      // 000000004410: 7F440280
	v_mov_b32_e32 v163, 0                                      // 000000004414: 7F460280
	v_mov_b32_e32 v164, 0                                      // 000000004418: 7F480280
	v_mov_b32_e32 v165, 0                                      // 00000000441C: 7F4A0280
	v_mov_b32_e32 v166, 0                                      // 000000004420: 7F4C0280
	v_mov_b32_e32 v167, 0                                      // 000000004424: 7F4E0280
	v_mov_b32_e32 v168, 0                                      // 000000004428: 7F500280
	v_mov_b32_e32 v169, 0                                      // 00000000442C: 7F520280
	v_mov_b32_e32 v170, 0                                      // 000000004430: 7F540280
	v_mov_b32_e32 v171, 0                                      // 000000004434: 7F560280
	v_mov_b32_e32 v172, 0                                      // 000000004438: 7F580280
	v_mov_b32_e32 v173, 0                                      // 00000000443C: 7F5A0280
	v_mov_b32_e32 v174, 0                                      // 000000004440: 7F5C0280
	v_mov_b32_e32 v175, 0                                      // 000000004444: 7F5E0280
	s_cmp_le_u32 s7, 0                                         // 000000004448: BF0B8007
	s_cbranch_scc1 label_12DA                                  // 00000000444C: BF851086
	v_lshrrev_b32_e32 v16, 5, v0                               // 000000004450: 20200085
	v_mul_i32_i24_e32 v17, 4, v16                              // 000000004454: 0C222084
	v_and_b32_e32 v16, 15, v0                                  // 000000004458: 2620008F
	v_mul_i32_i24_e32 v12, 0x44, v16                           // 00000000445C: 0C1820FF 00000044
	v_add_u32_e32 v12, v12, v17                                // 000000004464: 6818230C
	v_and_b32_e32 v16, 31, v0                                  // 000000004468: 2620009F
	v_lshrrev_b32_e32 v17, 4, v16                              // 00000000446C: 20222084
	v_lshlrev_b32_e32 v16, 5, v17                              // 000000004470: 24202285
	v_add_u32_e32 v12, v12, v16                                // 000000004474: 6818210C
	v_lshlrev_b32_e32 v12, 2, v12                              // 000000004478: 24181882
	v_lshrrev_b32_e32 v16, 5, v0                               // 00000000447C: 20200085
	v_mul_i32_i24_e32 v17, 32, v16                             // 000000004480: 0C2220A0
	v_and_b32_e32 v16, 31, v0                                  // 000000004484: 2620009F
	v_lshrrev_b32_e32 v16, 2, v16                              // 000000004488: 20202082
	v_add_u32_e32 v13, v17, v16                                // 00000000448C: 681A2111
	v_and_b32_e32 v16, 3, v0                                   // 000000004490: 26200083
	v_mul_i32_i24_e32 v16, 0x208, v16                          // 000000004494: 0C2020FF 00000208
	v_add_u32_e32 v13, v16, v13                                // 00000000449C: 681A1B10
	v_lshlrev_b32_e32 v13, 2, v13                              // 0000000044A0: 241A1A82
	s_mul_i32 s34, s5, 64                                      // 0000000044A4: 9222C005
	v_add_u32_e32 v14, s34, v0                                 // 0000000044A8: 681C0022
	v_lshlrev_b32_e32 v14, 2, v14                              // 0000000044AC: 241C1C82
	v_and_b32_e32 v16, 31, v0                                  // 0000000044B0: 2620009F
	v_lshlrev_b32_e32 v4, 2, v16                               // 0000000044B4: 24082082
	v_lshrrev_b32_e32 v16, 5, v0                               // 0000000044B8: 20200085
	s_mul_i32 s34, 16, s40                                     // 0000000044BC: 92222890
	v_mul_i32_i24_e32 v16, s34, v16                            // 0000000044C0: 0C202022
	v_add_u32_e32 v4, v4, v16                                  // 0000000044C4: 68082104
	s_mul_i32 s34, s5, s40                                     // 0000000044C8: 92222805
	v_add_u32_e32 v4, s34, v4                                  // 0000000044CC: 68080822
	s_mul_i32 s35, 8, s40                                      // 0000000044D0: 92232888
	v_add_u32_e32 v5, s35, v4                                  // 0000000044D4: 680A0823
	s_mul_i32 s34, 32, s40                                     // 0000000044D8: 922228A0
	v_add_u32_e32 v6, s34, v4                                  // 0000000044DC: 680C0822
	v_add_u32_e32 v7, s34, v5                                  // 0000000044E0: 680E0A22
	s_mul_i32 s34, s5, 0x110                                   // 0000000044E4: 9222FF05 00000110
	s_add_u32 s54, 0, s34                                      // 0000000044EC: 80362280
	s_add_u32 s55, 0x2200, s54                                 // 0000000044F0: 803736FF 00002200
	v_and_b32_e32 v16, 31, v0                                  // 0000000044F8: 2620009F
	v_lshlrev_b32_e32 v8, 2, v16                               // 0000000044FC: 24102082
	v_lshrrev_b32_e32 v16, 5, v0                               // 000000004500: 20200085
	v_lshlrev_b32_e32 v16, 2, v16                              // 000000004504: 24202082
	v_mul_i32_i24_e32 v16, s43, v16                            // 000000004508: 0C20202B
	v_add_u32_e32 v8, v16, v8                                  // 00000000450C: 68101110
	s_mul_i32 s35, 8, s5                                       // 000000004510: 92230588
	s_mul_i32 s34, s35, s43                                    // 000000004514: 92222B23
	v_add_u32_e32 v8, s34, v8                                  // 000000004518: 68101022
	v_add_u32_e32 v9, s43, v8                                  // 00000000451C: 6812102B
	v_add_u32_e32 v10, s43, v9                                 // 000000004520: 6814122B
	v_add_u32_e32 v11, s43, v10                                // 000000004524: 6816142B
	s_waitcnt vmcnt(0) expcnt(0) lgkmcnt(0)                    // 000000004528: BF8C0000
	s_barrier                                                  // 00000000452C: BF8A0000
	s_cmp_lt_i32 s5, 4                                         // 000000004530: BF048405
	s_cbranch_scc1 label_0296                                  // 000000004534: BF850008
	ds_read_b128 v[176:179], v2 offset:17408                   // 000000004538: D9FE4400 B0000002
	ds_read_b128 v[180:183], v2 offset:17440                   // 000000004540: D9FE4420 B4000002
	ds_read_b128 v[184:187], v2 offset:17472                   // 000000004548: D9FE4440 B8000002
	ds_read_b128 v[188:191], v2 offset:17504                   // 000000004550: D9FE4460 BC000002

0000000000004558 <label_0296>:
	s_waitcnt vmcnt(0) expcnt(0) lgkmcnt(0)                    // 000000004558: BF8C0000
	s_barrier                                                  // 00000000455C: BF8A0000
	s_mov_b32 m0, s54                                          // 000000004560: BEFC0036
	buffer_load_dword v4, s[12:15], s57 offen lds              // 000000004564: E0511000 39030004
	s_add_u32 m0, 0x880, m0                                    // 00000000456C: 807C7CFF 00000880
	buffer_load_dword v5, s[12:15], s57 offen lds              // 000000004574: E0511000 39030005
	s_add_u32 m0, 0x880, m0                                    // 00000000457C: 807C7CFF 00000880
	buffer_load_dword v6, s[12:15], s57 offen lds              // 000000004584: E0511000 39030006
	s_add_u32 m0, 0x880, m0                                    // 00000000458C: 807C7CFF 00000880
	buffer_load_dword v7, s[12:15], s57 offen lds              // 000000004594: E0511000 39030007
	s_add_u32 m0, 0x880, m0                                    // 00000000459C: 807C7CFF 00000880
	s_add_i32 s57, s64, s57                                    // 0000000045A4: 81393940
	s_waitcnt vmcnt(0)                                         // 0000000045A8: BF8C0F70
	s_barrier                                                  // 0000000045AC: BF8A0000
	ds_read_b128 v[192:195], v12                               // 0000000045B0: D9FE0000 C000000C
	ds_read_b128 v[196:199], v12 offset:32                     // 0000000045B8: D9FE0020 C400000C
	ds_read_b128 v[200:203], v12 offset:64                     // 0000000045C0: D9FE0040 C800000C
	ds_read_b128 v[204:207], v12 offset:96                     // 0000000045C8: D9FE0060 CC00000C
	ds_read_b128 v[208:211], v12 offset:4352                   // 0000000045D0: D9FE1100 D000000C
	ds_read_b128 v[212:215], v12 offset:4384                   // 0000000045D8: D9FE1120 D400000C
	ds_read_b128 v[216:219], v12 offset:4416                   // 0000000045E0: D9FE1140 D800000C
	ds_read_b128 v[220:223], v12 offset:4448                   // 0000000045E8: D9FE1160 DC00000C
	s_waitcnt lgkmcnt(0)                                       // 0000000045F0: BF8CC07F
	s_barrier                                                  // 0000000045F4: BF8A0000
	s_mov_b32 m0, s55                                          // 0000000045F8: BEFC0037
	s_nop 0                                                    // 0000000045FC: BF800000
	v_mfma_f32_32x32x16_fp8_fp8 v[48:63], v[192:193], v[176:177], 0// 000000004600: D3F70030 020361C0
	buffer_load_dword v4, s[12:15], s57 offen lds              // 000000004608: E0511000 39030004
	s_add_u32 m0, 0x880, m0                                    // 000000004610: 807C7CFF 00000880
	v_mfma_f32_32x32x16_fp8_fp8 v[48:63], v[194:195], v[178:179], v[48:63]// 000000004618: D3F70030 04C365C2
	v_mfma_f32_32x32x16_fp8_fp8 v[48:63], v[196:197], v[180:181], v[48:63]// 000000004620: D3F70030 04C369C4
	buffer_load_dword v5, s[12:15], s57 offen lds              // 000000004628: E0511000 39030005
	s_add_u32 m0, 0x880, m0                                    // 000000004630: 807C7CFF 00000880
	v_mfma_f32_32x32x16_fp8_fp8 v[48:63], v[198:199], v[182:183], v[48:63]// 000000004638: D3F70030 04C36DC6
	v_mfma_f32_32x32x16_fp8_fp8 v[48:63], v[200:201], v[184:185], v[48:63]// 000000004640: D3F70030 04C371C8
	buffer_load_dword v6, s[12:15], s57 offen lds              // 000000004648: E0511000 39030006
	s_add_u32 m0, 0x880, m0                                    // 000000004650: 807C7CFF 00000880
	v_mfma_f32_32x32x16_fp8_fp8 v[48:63], v[202:203], v[186:187], v[48:63]// 000000004658: D3F70030 04C375CA
	v_mfma_f32_32x32x16_fp8_fp8 v[48:63], v[204:205], v[188:189], v[48:63]// 000000004660: D3F70030 04C379CC
	buffer_load_dword v7, s[12:15], s57 offen lds              // 000000004668: E0511000 39030007
	s_add_u32 m0, 0x880, m0                                    // 000000004670: 807C7CFF 00000880
	v_mfma_f32_32x32x16_fp8_fp8 v[48:63], v[206:207], v[190:191], v[48:63]// 000000004678: D3F70030 04C37DCE
	v_mfma_f32_32x32x16_fp8_fp8 v[64:79], v[208:209], v[176:177], 0// 000000004680: D3F70040 020361D0
	buffer_load_dword v224, v8, s[16:19], s32 offen            // 000000004688: E0501000 2004E008
	v_mfma_f32_32x32x16_fp8_fp8 v[64:79], v[210:211], v[178:179], v[64:79]// 000000004690: D3F70040 050365D2
	v_mfma_f32_32x32x16_fp8_fp8 v[64:79], v[212:213], v[180:181], v[64:79]// 000000004698: D3F70040 050369D4
	buffer_load_dword v225, v9, s[16:19], s32 offen            // 0000000046A0: E0501000 2004E109
	v_mfma_f32_32x32x16_fp8_fp8 v[64:79], v[214:215], v[182:183], v[64:79]// 0000000046A8: D3F70040 05036DD6
	v_mfma_f32_32x32x16_fp8_fp8 v[64:79], v[216:217], v[184:185], v[64:79]// 0000000046B0: D3F70040 050371D8
	buffer_load_dword v226, v10, s[16:19], s32 offen           // 0000000046B8: E0501000 2004E20A
	v_mfma_f32_32x32x16_fp8_fp8 v[64:79], v[218:219], v[186:187], v[64:79]// 0000000046C0: D3F70040 050375DA
	v_mfma_f32_32x32x16_fp8_fp8 v[64:79], v[220:221], v[188:189], v[64:79]// 0000000046C8: D3F70040 050379DC
	buffer_load_dword v227, v11, s[16:19], s32 offen           // 0000000046D0: E0501000 2004E30B
	v_mfma_f32_32x32x16_fp8_fp8 v[64:79], v[222:223], v[190:191], v[64:79]// 0000000046D8: D3F70040 05037DDE
	s_add_i32 s57, s64, s57                                    // 0000000046E0: 81393940
	s_add_i32 s32, s65, s32                                    // 0000000046E4: 81202041
	s_cmp_lt_i32 s72, s71                                      // 0000000046E8: BF044748
	s_cbranch_scc1 label_0408                                  // 0000000046EC: BF85010C
	s_sub_i32 s34, s71, s72                                    // 0000000046F0: 81A24847
	s_sub_i32 s35, s7, s29                                     // 0000000046F4: 81A31D07
	s_and_b32 s35, s35, 63                                     // 0000000046F8: 8623BF23
	s_add_i32 s34, s34, s35                                    // 0000000046FC: 81222322
	v_add_i32 v16, v29, s34                                    // 000000004700: D29C0010 0000451D
	v_cmp_lt_i32_e64 s[50:51], v16, 0                          // 000000004708: D0C10032 00010110
	v_cmp_lt_i32_e64 s[52:53], v16, 1                          // 000000004710: D0C10034 00010310
	v_cndmask_b32_e64 v48, v48, v31, s[50:51]                  // 000000004718: D1000030 00CA3F30
	v_cndmask_b32_e64 v49, v49, v31, s[52:53]                  // 000000004720: D1000031 00D23F31
	v_cmp_lt_i32_e64 s[50:51], v16, 2                          // 000000004728: D0C10032 00010510
	v_cmp_lt_i32_e64 s[52:53], v16, 3                          // 000000004730: D0C10034 00010710
	v_cndmask_b32_e64 v50, v50, v31, s[50:51]                  // 000000004738: D1000032 00CA3F32
	v_cndmask_b32_e64 v51, v51, v31, s[52:53]                  // 000000004740: D1000033 00D23F33
	v_cmp_lt_i32_e64 s[50:51], v16, 8                          // 000000004748: D0C10032 00011110
	v_cmp_lt_i32_e64 s[52:53], v16, 9                          // 000000004750: D0C10034 00011310
	v_cndmask_b32_e64 v52, v52, v31, s[50:51]                  // 000000004758: D1000034 00CA3F34
	v_cndmask_b32_e64 v53, v53, v31, s[52:53]                  // 000000004760: D1000035 00D23F35
	v_cmp_lt_i32_e64 s[50:51], v16, 10                         // 000000004768: D0C10032 00011510
	v_cmp_lt_i32_e64 s[52:53], v16, 11                         // 000000004770: D0C10034 00011710
	v_cndmask_b32_e64 v54, v54, v31, s[50:51]                  // 000000004778: D1000036 00CA3F36
	v_cndmask_b32_e64 v55, v55, v31, s[52:53]                  // 000000004780: D1000037 00D23F37
	v_cmp_lt_i32_e64 s[50:51], v16, 16                         // 000000004788: D0C10032 00012110
	v_cmp_lt_i32_e64 s[52:53], v16, 17                         // 000000004790: D0C10034 00012310
	v_cndmask_b32_e64 v56, v56, v31, s[50:51]                  // 000000004798: D1000038 00CA3F38
	v_cndmask_b32_e64 v57, v57, v31, s[52:53]                  // 0000000047A0: D1000039 00D23F39
	v_cmp_lt_i32_e64 s[50:51], v16, 18                         // 0000000047A8: D0C10032 00012510
	v_cmp_lt_i32_e64 s[52:53], v16, 19                         // 0000000047B0: D0C10034 00012710
	v_cndmask_b32_e64 v58, v58, v31, s[50:51]                  // 0000000047B8: D100003A 00CA3F3A
	v_cndmask_b32_e64 v59, v59, v31, s[52:53]                  // 0000000047C0: D100003B 00D23F3B
	v_cmp_lt_i32_e64 s[50:51], v16, 24                         // 0000000047C8: D0C10032 00013110
	v_cmp_lt_i32_e64 s[52:53], v16, 25                         // 0000000047D0: D0C10034 00013310
	v_cndmask_b32_e64 v60, v60, v31, s[50:51]                  // 0000000047D8: D100003C 00CA3F3C
	v_cndmask_b32_e64 v61, v61, v31, s[52:53]                  // 0000000047E0: D100003D 00D23F3D
	v_cmp_lt_i32_e64 s[50:51], v16, 26                         // 0000000047E8: D0C10032 00013510
	v_cmp_lt_i32_e64 s[52:53], v16, 27                         // 0000000047F0: D0C10034 00013710
	v_cndmask_b32_e64 v62, v62, v31, s[50:51]                  // 0000000047F8: D100003E 00CA3F3E
	v_cndmask_b32_e64 v63, v63, v31, s[52:53]                  // 000000004800: D100003F 00D23F3F
	v_cmp_lt_i32_e64 s[50:51], v16, 32                         // 000000004808: D0C10032 00014110
	v_cmp_lt_i32_e64 s[52:53], v16, 33                         // 000000004810: D0C10034 00014310
	v_cndmask_b32_e64 v64, v64, v31, s[50:51]                  // 000000004818: D1000040 00CA3F40
	v_cndmask_b32_e64 v65, v65, v31, s[52:53]                  // 000000004820: D1000041 00D23F41
	v_cmp_lt_i32_e64 s[50:51], v16, 34                         // 000000004828: D0C10032 00014510
	v_cmp_lt_i32_e64 s[52:53], v16, 35                         // 000000004830: D0C10034 00014710
	v_cndmask_b32_e64 v66, v66, v31, s[50:51]                  // 000000004838: D1000042 00CA3F42
	v_cndmask_b32_e64 v67, v67, v31, s[52:53]                  // 000000004840: D1000043 00D23F43
	v_cmp_lt_i32_e64 s[50:51], v16, 40                         // 000000004848: D0C10032 00015110
	v_cmp_lt_i32_e64 s[52:53], v16, 41                         // 000000004850: D0C10034 00015310
	v_cndmask_b32_e64 v68, v68, v31, s[50:51]                  // 000000004858: D1000044 00CA3F44
	v_cndmask_b32_e64 v69, v69, v31, s[52:53]                  // 000000004860: D1000045 00D23F45
	v_cmp_lt_i32_e64 s[50:51], v16, 42                         // 000000004868: D0C10032 00015510
	v_cmp_lt_i32_e64 s[52:53], v16, 43                         // 000000004870: D0C10034 00015710
	v_cndmask_b32_e64 v70, v70, v31, s[50:51]                  // 000000004878: D1000046 00CA3F46
	v_cndmask_b32_e64 v71, v71, v31, s[52:53]                  // 000000004880: D1000047 00D23F47
	v_cmp_lt_i32_e64 s[50:51], v16, 48                         // 000000004888: D0C10032 00016110
	v_cmp_lt_i32_e64 s[52:53], v16, 49                         // 000000004890: D0C10034 00016310
	v_cndmask_b32_e64 v72, v72, v31, s[50:51]                  // 000000004898: D1000048 00CA3F48
	v_cndmask_b32_e64 v73, v73, v31, s[52:53]                  // 0000000048A0: D1000049 00D23F49
	v_cmp_lt_i32_e64 s[50:51], v16, 50                         // 0000000048A8: D0C10032 00016510
	v_cmp_lt_i32_e64 s[52:53], v16, 51                         // 0000000048B0: D0C10034 00016710
	v_cndmask_b32_e64 v74, v74, v31, s[50:51]                  // 0000000048B8: D100004A 00CA3F4A
	v_cndmask_b32_e64 v75, v75, v31, s[52:53]                  // 0000000048C0: D100004B 00D23F4B
	v_cmp_lt_i32_e64 s[50:51], v16, 56                         // 0000000048C8: D0C10032 00017110
	v_cmp_lt_i32_e64 s[52:53], v16, 57                         // 0000000048D0: D0C10034 00017310
	v_cndmask_b32_e64 v76, v76, v31, s[50:51]                  // 0000000048D8: D100004C 00CA3F4C
	v_cndmask_b32_e64 v77, v77, v31, s[52:53]                  // 0000000048E0: D100004D 00D23F4D
	v_cmp_lt_i32_e64 s[50:51], v16, 58                         // 0000000048E8: D0C10032 00017510
	v_cmp_lt_i32_e64 s[52:53], v16, 59                         // 0000000048F0: D0C10034 00017710
	v_cndmask_b32_e64 v78, v78, v31, s[50:51]                  // 0000000048F8: D100004E 00CA3F4E
	v_cndmask_b32_e64 v79, v79, v31, s[52:53]                  // 000000004900: D100004F 00D23F4F
	s_nop 0                                                    // 000000004908: BF800000
	s_cmp_lt_i32 s72, s76                                      // 00000000490C: BF044C48
	s_cbranch_scc1 label_0408                                  // 000000004910: BF850083
	s_sub_i32 s34, s7, s72                                     // 000000004914: 81A24807
	v_sub_i32 v16, s34, v30                                    // 000000004918: D29D0010 00023C22
	v_cmp_lt_i32_e64 s[50:51], 0, v16                          // 000000004920: D0C10032 00022080
	v_cmp_lt_i32_e64 s[52:53], 1, v16                          // 000000004928: D0C10034 00022081
	v_cndmask_b32_e64 v48, v31, v48, s[50:51]                  // 000000004930: D1000030 00CA611F
	v_cndmask_b32_e64 v49, v31, v49, s[52:53]                  // 000000004938: D1000031 00D2631F
	v_cmp_lt_i32_e64 s[50:51], 2, v16                          // 000000004940: D0C10032 00022082
	v_cmp_lt_i32_e64 s[52:53], 3, v16                          // 000000004948: D0C10034 00022083
	v_cndmask_b32_e64 v50, v31, v50, s[50:51]                  // 000000004950: D1000032 00CA651F
	v_cndmask_b32_e64 v51, v31, v51, s[52:53]                  // 000000004958: D1000033 00D2671F
	v_cmp_lt_i32_e64 s[50:51], 8, v16                          // 000000004960: D0C10032 00022088
	v_cmp_lt_i32_e64 s[52:53], 9, v16                          // 000000004968: D0C10034 00022089
	v_cndmask_b32_e64 v52, v31, v52, s[50:51]                  // 000000004970: D1000034 00CA691F
	v_cndmask_b32_e64 v53, v31, v53, s[52:53]                  // 000000004978: D1000035 00D26B1F
	v_cmp_lt_i32_e64 s[50:51], 10, v16                         // 000000004980: D0C10032 0002208A
	v_cmp_lt_i32_e64 s[52:53], 11, v16                         // 000000004988: D0C10034 0002208B
	v_cndmask_b32_e64 v54, v31, v54, s[50:51]                  // 000000004990: D1000036 00CA6D1F
	v_cndmask_b32_e64 v55, v31, v55, s[52:53]                  // 000000004998: D1000037 00D26F1F
	v_cmp_lt_i32_e64 s[50:51], 16, v16                         // 0000000049A0: D0C10032 00022090
	v_cmp_lt_i32_e64 s[52:53], 17, v16                         // 0000000049A8: D0C10034 00022091
	v_cndmask_b32_e64 v56, v31, v56, s[50:51]                  // 0000000049B0: D1000038 00CA711F
	v_cndmask_b32_e64 v57, v31, v57, s[52:53]                  // 0000000049B8: D1000039 00D2731F
	v_cmp_lt_i32_e64 s[50:51], 18, v16                         // 0000000049C0: D0C10032 00022092
	v_cmp_lt_i32_e64 s[52:53], 19, v16                         // 0000000049C8: D0C10034 00022093
	v_cndmask_b32_e64 v58, v31, v58, s[50:51]                  // 0000000049D0: D100003A 00CA751F
	v_cndmask_b32_e64 v59, v31, v59, s[52:53]                  // 0000000049D8: D100003B 00D2771F
	v_cmp_lt_i32_e64 s[50:51], 24, v16                         // 0000000049E0: D0C10032 00022098
	v_cmp_lt_i32_e64 s[52:53], 25, v16                         // 0000000049E8: D0C10034 00022099
	v_cndmask_b32_e64 v60, v31, v60, s[50:51]                  // 0000000049F0: D100003C 00CA791F
	v_cndmask_b32_e64 v61, v31, v61, s[52:53]                  // 0000000049F8: D100003D 00D27B1F
	v_cmp_lt_i32_e64 s[50:51], 26, v16                         // 000000004A00: D0C10032 0002209A
	v_cmp_lt_i32_e64 s[52:53], 27, v16                         // 000000004A08: D0C10034 0002209B
	v_cndmask_b32_e64 v62, v31, v62, s[50:51]                  // 000000004A10: D100003E 00CA7D1F
	v_cndmask_b32_e64 v63, v31, v63, s[52:53]                  // 000000004A18: D100003F 00D27F1F
	v_cmp_lt_i32_e64 s[50:51], 32, v16                         // 000000004A20: D0C10032 000220A0
	v_cmp_lt_i32_e64 s[52:53], 33, v16                         // 000000004A28: D0C10034 000220A1
	v_cndmask_b32_e64 v64, v31, v64, s[50:51]                  // 000000004A30: D1000040 00CA811F
	v_cndmask_b32_e64 v65, v31, v65, s[52:53]                  // 000000004A38: D1000041 00D2831F
	v_cmp_lt_i32_e64 s[50:51], 34, v16                         // 000000004A40: D0C10032 000220A2
	v_cmp_lt_i32_e64 s[52:53], 35, v16                         // 000000004A48: D0C10034 000220A3
	v_cndmask_b32_e64 v66, v31, v66, s[50:51]                  // 000000004A50: D1000042 00CA851F
	v_cndmask_b32_e64 v67, v31, v67, s[52:53]                  // 000000004A58: D1000043 00D2871F
	v_cmp_lt_i32_e64 s[50:51], 40, v16                         // 000000004A60: D0C10032 000220A8
	v_cmp_lt_i32_e64 s[52:53], 41, v16                         // 000000004A68: D0C10034 000220A9
	v_cndmask_b32_e64 v68, v31, v68, s[50:51]                  // 000000004A70: D1000044 00CA891F
	v_cndmask_b32_e64 v69, v31, v69, s[52:53]                  // 000000004A78: D1000045 00D28B1F
	v_cmp_lt_i32_e64 s[50:51], 42, v16                         // 000000004A80: D0C10032 000220AA
	v_cmp_lt_i32_e64 s[52:53], 43, v16                         // 000000004A88: D0C10034 000220AB
	v_cndmask_b32_e64 v70, v31, v70, s[50:51]                  // 000000004A90: D1000046 00CA8D1F
	v_cndmask_b32_e64 v71, v31, v71, s[52:53]                  // 000000004A98: D1000047 00D28F1F
	v_cmp_lt_i32_e64 s[50:51], 48, v16                         // 000000004AA0: D0C10032 000220B0
	v_cmp_lt_i32_e64 s[52:53], 49, v16                         // 000000004AA8: D0C10034 000220B1
	v_cndmask_b32_e64 v72, v31, v72, s[50:51]                  // 000000004AB0: D1000048 00CA911F
	v_cndmask_b32_e64 v73, v31, v73, s[52:53]                  // 000000004AB8: D1000049 00D2931F
	v_cmp_lt_i32_e64 s[50:51], 50, v16                         // 000000004AC0: D0C10032 000220B2
	v_cmp_lt_i32_e64 s[52:53], 51, v16                         // 000000004AC8: D0C10034 000220B3
	v_cndmask_b32_e64 v74, v31, v74, s[50:51]                  // 000000004AD0: D100004A 00CA951F
	v_cndmask_b32_e64 v75, v31, v75, s[52:53]                  // 000000004AD8: D100004B 00D2971F
	v_cmp_lt_i32_e64 s[50:51], 56, v16                         // 000000004AE0: D0C10032 000220B8
	v_cmp_lt_i32_e64 s[52:53], 57, v16                         // 000000004AE8: D0C10034 000220B9
	v_cndmask_b32_e64 v76, v31, v76, s[50:51]                  // 000000004AF0: D100004C 00CA991F
	v_cndmask_b32_e64 v77, v31, v77, s[52:53]                  // 000000004AF8: D100004D 00D29B1F
	v_cmp_lt_i32_e64 s[50:51], 58, v16                         // 000000004B00: D0C10032 000220BA
	v_cmp_lt_i32_e64 s[52:53], 59, v16                         // 000000004B08: D0C10034 000220BB
	v_cndmask_b32_e64 v78, v31, v78, s[50:51]                  // 000000004B10: D100004E 00CA9D1F
	v_cndmask_b32_e64 v79, v31, v79, s[52:53]                  // 000000004B18: D100004F 00D29F1F

0000000000004b20 <label_0408>:
	v_max3_f32 v25, v48, v49, v28                              // 000000004B20: D1D30019 04726330
	v_max3_f32 v25, v50, v51, v25                              // 000000004B28: D1D30019 04666732
	v_max3_f32 v25, v52, v53, v25                              // 000000004B30: D1D30019 04666B34
	v_max3_f32 v25, v54, v55, v25                              // 000000004B38: D1D30019 04666F36
	v_max3_f32 v25, v56, v57, v25                              // 000000004B40: D1D30019 04667338
	v_max3_f32 v25, v58, v59, v25                              // 000000004B48: D1D30019 0466773A
	v_max3_f32 v25, v60, v61, v25                              // 000000004B50: D1D30019 04667B3C
	v_max3_f32 v25, v62, v63, v25                              // 000000004B58: D1D30019 04667F3E
	v_max3_f32 v25, v64, v65, v25                              // 000000004B60: D1D30019 04668340
	v_max3_f32 v25, v66, v67, v25                              // 000000004B68: D1D30019 04668742
	v_max3_f32 v25, v68, v69, v25                              // 000000004B70: D1D30019 04668B44
	v_max3_f32 v25, v70, v71, v25                              // 000000004B78: D1D30019 04668F46
	v_max3_f32 v25, v72, v73, v25                              // 000000004B80: D1D30019 04669348
	v_max3_f32 v25, v74, v75, v25                              // 000000004B88: D1D30019 0466974A
	v_max3_f32 v25, v76, v77, v25                              // 000000004B90: D1D30019 04669B4C
	v_max3_f32 v25, v78, v79, v25                              // 000000004B98: D1D30019 04669F4E
	ds_permute_b32 v24, v32, v25                               // 000000004BA0: D87C0000 18001920
	v_nop                                                      // 000000004BA8: 7E000000
	s_nop 0                                                    // 000000004BAC: BF800000
	v_nop                                                      // 000000004BB0: 7E000000
	s_waitcnt lgkmcnt(0)                                       // 000000004BB4: BF8CC07F
	v_max_f32_e32 v25, v24, v25                                // 000000004BB8: 16323318
	v_mov_b32_e32 v20, 0                                       // 000000004BBC: 7E280280
	v_mov_b32_e32 v28, v25                                     // 000000004BC0: 7E380319
	v_mul_f32_e32 v27, s74, v25                                // 000000004BC4: 0A36324A
	v_mul_f32_e32 v20, s74, v20                                // 000000004BC8: 0A28284A
	v_exp_f32_e32 v20, v20                                     // 000000004BCC: 7E284114
	v_fma_f32 v48, v48, s74, -v27                              // 000000004BD0: D1CB0030 846C9530
	v_fma_f32 v49, v49, s74, -v27                              // 000000004BD8: D1CB0031 846C9531
	v_fma_f32 v50, v50, s74, -v27                              // 000000004BE0: D1CB0032 846C9532
	v_fma_f32 v51, v51, s74, -v27                              // 000000004BE8: D1CB0033 846C9533
	v_fma_f32 v52, v52, s74, -v27                              // 000000004BF0: D1CB0034 846C9534
	v_fma_f32 v53, v53, s74, -v27                              // 000000004BF8: D1CB0035 846C9535
	v_fma_f32 v54, v54, s74, -v27                              // 000000004C00: D1CB0036 846C9536
	v_fma_f32 v55, v55, s74, -v27                              // 000000004C08: D1CB0037 846C9537
	v_fma_f32 v56, v56, s74, -v27                              // 000000004C10: D1CB0038 846C9538
	v_fma_f32 v57, v57, s74, -v27                              // 000000004C18: D1CB0039 846C9539
	v_fma_f32 v58, v58, s74, -v27                              // 000000004C20: D1CB003A 846C953A
	v_fma_f32 v59, v59, s74, -v27                              // 000000004C28: D1CB003B 846C953B
	v_fma_f32 v60, v60, s74, -v27                              // 000000004C30: D1CB003C 846C953C
	v_fma_f32 v61, v61, s74, -v27                              // 000000004C38: D1CB003D 846C953D
	v_fma_f32 v62, v62, s74, -v27                              // 000000004C40: D1CB003E 846C953E
	v_fma_f32 v63, v63, s74, -v27                              // 000000004C48: D1CB003F 846C953F
	v_fma_f32 v64, v64, s74, -v27                              // 000000004C50: D1CB0040 846C9540
	v_fma_f32 v65, v65, s74, -v27                              // 000000004C58: D1CB0041 846C9541
	v_fma_f32 v66, v66, s74, -v27                              // 000000004C60: D1CB0042 846C9542
	v_fma_f32 v67, v67, s74, -v27                              // 000000004C68: D1CB0043 846C9543
	v_fma_f32 v68, v68, s74, -v27                              // 000000004C70: D1CB0044 846C9544
	v_fma_f32 v69, v69, s74, -v27                              // 000000004C78: D1CB0045 846C9545
	v_fma_f32 v70, v70, s74, -v27                              // 000000004C80: D1CB0046 846C9546
	v_fma_f32 v71, v71, s74, -v27                              // 000000004C88: D1CB0047 846C9547
	v_fma_f32 v72, v72, s74, -v27                              // 000000004C90: D1CB0048 846C9548
	v_fma_f32 v73, v73, s74, -v27                              // 000000004C98: D1CB0049 846C9549
	v_fma_f32 v74, v74, s74, -v27                              // 000000004CA0: D1CB004A 846C954A
	v_fma_f32 v75, v75, s74, -v27                              // 000000004CA8: D1CB004B 846C954B
	v_fma_f32 v76, v76, s74, -v27                              // 000000004CB0: D1CB004C 846C954C
	v_fma_f32 v77, v77, s74, -v27                              // 000000004CB8: D1CB004D 846C954D
	v_fma_f32 v78, v78, s74, -v27                              // 000000004CC0: D1CB004E 846C954E
	v_fma_f32 v79, v79, s74, -v27                              // 000000004CC8: D1CB004F 846C954F
	v_exp_f32_e32 v48, v48                                     // 000000004CD0: 7E604130
	v_exp_f32_e32 v49, v49                                     // 000000004CD4: 7E624131
	v_exp_f32_e32 v50, v50                                     // 000000004CD8: 7E644132
	v_exp_f32_e32 v51, v51                                     // 000000004CDC: 7E664133
	v_exp_f32_e32 v52, v52                                     // 000000004CE0: 7E684134
	v_exp_f32_e32 v53, v53                                     // 000000004CE4: 7E6A4135
	v_exp_f32_e32 v54, v54                                     // 000000004CE8: 7E6C4136
	v_exp_f32_e32 v55, v55                                     // 000000004CEC: 7E6E4137
	s_addk_i32 s63, 0x40                                       // 000000004CF0: B73F0040
	s_add_i32 s72, s72, s73                                    // 000000004CF4: 81484948
	s_mov_b32 m0, s54                                          // 000000004CF8: BEFC0036
	buffer_load_dword v4, s[12:15], s57 offen lds              // 000000004CFC: E0511000 39030004
	s_add_u32 m0, 0x880, m0                                    // 000000004D04: 807C7CFF 00000880
	buffer_load_dword v5, s[12:15], s57 offen lds              // 000000004D0C: E0511000 39030005
	s_add_u32 m0, 0x880, m0                                    // 000000004D14: 807C7CFF 00000880
	buffer_load_dword v6, s[12:15], s57 offen lds              // 000000004D1C: E0511000 39030006
	s_add_u32 m0, 0x880, m0                                    // 000000004D24: 807C7CFF 00000880
	buffer_load_dword v7, s[12:15], s57 offen lds              // 000000004D2C: E0511000 39030007
	s_add_u32 m0, 0x880, m0                                    // 000000004D34: 807C7CFF 00000880
	s_add_i32 s57, s64, s57                                    // 000000004D3C: 81393940
	s_waitcnt vmcnt(8)                                         // 000000004D40: BF8C0F78
	s_barrier                                                  // 000000004D44: BF8A0000
	s_cmp_lt_i32 s63, s62                                      // 000000004D48: BF043E3F
	s_cbranch_scc0 label_10A2                                  // 000000004D4C: BF840C0E
	s_cmp_lt_i32 s5, 4                                         // 000000004D50: BF048405
	s_cbranch_scc0 label_0AAA                                  // 000000004D54: BF840614
	buffer_load_dword v228, v8, s[16:19], s32 offen            // 000000004D58: E0501000 2004E408
	buffer_load_dword v229, v9, s[16:19], s32 offen            // 000000004D60: E0501000 2004E509
	buffer_load_dword v230, v10, s[16:19], s32 offen           // 000000004D68: E0501000 2004E60A
	buffer_load_dword v231, v11, s[16:19], s32 offen           // 000000004D70: E0501000 2004E70B
	s_add_i32 s32, s65, s32                                    // 000000004D78: 81202041
	ds_read_b128 v[192:195], v12 offset:8704                   // 000000004D7C: D9FE2200 C000000C
	ds_read_b128 v[196:199], v12 offset:8736                   // 000000004D84: D9FE2220 C400000C
	ds_read_b128 v[200:203], v12 offset:8768                   // 000000004D8C: D9FE2240 C800000C
	ds_read_b128 v[204:207], v12 offset:8800                   // 000000004D94: D9FE2260 CC00000C
	ds_read_b128 v[208:211], v12 offset:13056                  // 000000004D9C: D9FE3300 D000000C
	ds_read_b128 v[212:215], v12 offset:13088                  // 000000004DA4: D9FE3320 D400000C
	ds_read_b128 v[216:219], v12 offset:13120                  // 000000004DAC: D9FE3340 D800000C
	ds_read_b128 v[220:223], v12 offset:13152                  // 000000004DB4: D9FE3360 DC00000C
	s_setprio 0                                                // 000000004DBC: BF8F0000
	s_barrier                                                  // 000000004DC0: BF8A0000

0000000000004dc4 <label_04B1>:
	s_barrier                                                  // 000000004DC4: BF8A0000
	s_waitcnt lgkmcnt(0)                                       // 000000004DC8: BF8CC07F
	v_mfma_f32_32x32x16_fp8_fp8 v[80:95], v[192:193], v[176:177], 0// 000000004DCC: D3F70050 020361C0
	v_exp_f32_e32 v56, v56                                     // 000000004DD4: 7E704138
	v_exp_f32_e32 v57, v57                                     // 000000004DD8: 7E724139
	v_mfma_f32_32x32x16_fp8_fp8 v[80:95], v[194:195], v[178:179], v[80:95]// 000000004DDC: D3F70050 054365C2
	v_exp_f32_e32 v58, v58                                     // 000000004DE4: 7E74413A
	v_exp_f32_e32 v59, v59                                     // 000000004DE8: 7E76413B
	v_mfma_f32_32x32x16_fp8_fp8 v[80:95], v[196:197], v[180:181], v[80:95]// 000000004DEC: D3F70050 054369C4
	v_exp_f32_e32 v60, v60                                     // 000000004DF4: 7E78413C
	v_exp_f32_e32 v61, v61                                     // 000000004DF8: 7E7A413D
	v_mfma_f32_32x32x16_fp8_fp8 v[80:95], v[198:199], v[182:183], v[80:95]// 000000004DFC: D3F70050 05436DC6
	v_exp_f32_e32 v62, v62                                     // 000000004E04: 7E7C413E
	v_exp_f32_e32 v63, v63                                     // 000000004E08: 7E7E413F
	v_mfma_f32_32x32x16_fp8_fp8 v[80:95], v[200:201], v[184:185], v[80:95]// 000000004E0C: D3F70050 054371C8
	v_exp_f32_e32 v64, v64                                     // 000000004E14: 7E804140
	v_exp_f32_e32 v65, v65                                     // 000000004E18: 7E824141
	v_mfma_f32_32x32x16_fp8_fp8 v[80:95], v[202:203], v[186:187], v[80:95]// 000000004E1C: D3F70050 054375CA
	v_exp_f32_e32 v66, v66                                     // 000000004E24: 7E844142
	v_exp_f32_e32 v67, v67                                     // 000000004E28: 7E864143
	v_mfma_f32_32x32x16_fp8_fp8 v[80:95], v[204:205], v[188:189], v[80:95]// 000000004E2C: D3F70050 054379CC
	v_exp_f32_e32 v68, v68                                     // 000000004E34: 7E884144
	v_exp_f32_e32 v69, v69                                     // 000000004E38: 7E8A4145
	v_mfma_f32_32x32x16_fp8_fp8 v[80:95], v[206:207], v[190:191], v[80:95]// 000000004E3C: D3F70050 05437DCE
	v_exp_f32_e32 v70, v70                                     // 000000004E44: 7E8C4146
	v_exp_f32_e32 v71, v71                                     // 000000004E48: 7E8E4147
	v_mfma_f32_32x32x16_fp8_fp8 v[96:111], v[208:209], v[176:177], 0// 000000004E4C: D3F70060 020361D0
	v_exp_f32_e32 v72, v72                                     // 000000004E54: 7E904148
	v_exp_f32_e32 v73, v73                                     // 000000004E58: 7E924149
	v_mfma_f32_32x32x16_fp8_fp8 v[96:111], v[210:211], v[178:179], v[96:111]// 000000004E5C: D3F70060 058365D2
	v_exp_f32_e32 v74, v74                                     // 000000004E64: 7E94414A
	v_exp_f32_e32 v75, v75                                     // 000000004E68: 7E96414B
	v_mfma_f32_32x32x16_fp8_fp8 v[96:111], v[212:213], v[180:181], v[96:111]// 000000004E6C: D3F70060 058369D4
	v_exp_f32_e32 v76, v76                                     // 000000004E74: 7E98414C
	v_exp_f32_e32 v77, v77                                     // 000000004E78: 7E9A414D
	v_mfma_f32_32x32x16_fp8_fp8 v[96:111], v[214:215], v[182:183], v[96:111]// 000000004E7C: D3F70060 05836DD6
	s_waitcnt vmcnt(8)                                         // 000000004E84: BF8C0F78
	s_barrier                                                  // 000000004E88: BF8A0000
	v_mfma_f32_32x32x16_fp8_fp8 v[96:111], v[216:217], v[184:185], v[96:111]// 000000004E8C: D3F70060 058371D8
	v_exp_f32_e32 v78, v78                                     // 000000004E94: 7E9C414E
	v_exp_f32_e32 v79, v79                                     // 000000004E98: 7E9E414F
	v_mfma_f32_32x32x16_fp8_fp8 v[96:111], v[218:219], v[186:187], v[96:111]// 000000004E9C: D3F70060 058375DA
	v_mul_f32_e32 v22, v20, v22                                // 000000004EA4: 0A2C2D14
	v_add_f32_e32 v38, v49, v48                                // 000000004EA8: 024C6131
	v_add_f32_e32 v38, v50, v38                                // 000000004EAC: 024C4D32
	v_add_f32_e32 v38, v51, v38                                // 000000004EB0: 024C4D33
	v_mfma_f32_32x32x16_fp8_fp8 v[96:111], v[220:221], v[188:189], v[96:111]// 000000004EB4: D3F70060 058379DC
	v_add_f32_e32 v38, v52, v38                                // 000000004EBC: 024C4D34
	v_add_f32_e32 v38, v53, v38                                // 000000004EC0: 024C4D35
	v_add_f32_e32 v38, v54, v38                                // 000000004EC4: 024C4D36
	v_add_f32_e32 v38, v55, v38                                // 000000004EC8: 024C4D37
	v_add_f32_e32 v38, v56, v38                                // 000000004ECC: 024C4D38
	v_add_f32_e32 v38, v57, v38                                // 000000004ED0: 024C4D39
	v_add_f32_e32 v38, v58, v38                                // 000000004ED4: 024C4D3A
	v_mfma_f32_32x32x16_fp8_fp8 v[96:111], v[222:223], v[190:191], v[96:111]// 000000004ED8: D3F70060 05837DDE
	v_perm_b32 v16, v225, v224, s69                            // 000000004EE0: D1ED0010 0117C1E1
	v_perm_b32 v17, v225, v224, s70                            // 000000004EE8: D1ED0011 011BC1E1
	v_perm_b32 v18, v227, v226, s69                            // 000000004EF0: D1ED0012 0117C5E3
	v_perm_b32 v19, v227, v226, s70                            // 000000004EF8: D1ED0013 011BC5E3
	v_perm_b32 v232, v18, v16, s68                             // 000000004F00: D1ED00E8 01122112
	v_perm_b32 v233, v18, v16, s67                             // 000000004F08: D1ED00E9 010E2112
	v_perm_b32 v234, v19, v17, s68                             // 000000004F10: D1ED00EA 01122313
	v_perm_b32 v235, v19, v17, s67                             // 000000004F18: D1ED00EB 010E2313
	v_add_f32_e32 v38, v59, v38                                // 000000004F20: 024C4D3B
	v_add_f32_e32 v38, v60, v38                                // 000000004F24: 024C4D3C
	v_add_f32_e32 v38, v61, v38                                // 000000004F28: 024C4D3D
	v_add_f32_e32 v38, v62, v38                                // 000000004F2C: 024C4D3E
	v_add_f32_e32 v38, v63, v38                                // 000000004F30: 024C4D3F
	v_add_f32_e32 v38, v64, v38                                // 000000004F34: 024C4D40
	v_add_f32_e32 v38, v65, v38                                // 000000004F38: 024C4D41
	v_add_f32_e32 v38, v66, v38                                // 000000004F3C: 024C4D42
	v_add_f32_e32 v38, v67, v38                                // 000000004F40: 024C4D43
	v_add_f32_e32 v38, v68, v38                                // 000000004F44: 024C4D44
	v_add_f32_e32 v38, v69, v38                                // 000000004F48: 024C4D45
	v_add_f32_e32 v38, v70, v38                                // 000000004F4C: 024C4D46
	v_add_f32_e32 v38, v71, v38                                // 000000004F50: 024C4D47
	v_add_f32_e32 v38, v72, v38                                // 000000004F54: 024C4D48
	v_add_f32_e32 v38, v73, v38                                // 000000004F58: 024C4D49
	v_add_f32_e32 v38, v74, v38                                // 000000004F5C: 024C4D4A
	v_add_f32_e32 v38, v75, v38                                // 000000004F60: 024C4D4B
	v_add_f32_e32 v38, v76, v38                                // 000000004F64: 024C4D4C
	v_add_f32_e32 v38, v77, v38                                // 000000004F68: 024C4D4D
	v_add_f32_e32 v38, v78, v38                                // 000000004F6C: 024C4D4E
	v_add_f32_e32 v38, v79, v38                                // 000000004F70: 024C4D4F
	v_add_f32_e32 v22, v38, v22                                // 000000004F74: 022C2D26
	v_cvt_pk_fp8_f32 v48, v48, v49                             // 000000004F78: D2A20030 00026330
	v_cvt_pk_fp8_f32 v48, v50, v51 op_sel:[0,0,1]              // 000000004F80: D2A24030 00026732
	v_cvt_pk_fp8_f32 v49, v52, v53                             // 000000004F88: D2A20031 00026B34
	v_cvt_pk_fp8_f32 v49, v54, v55 op_sel:[0,0,1]              // 000000004F90: D2A24031 00026F36
	v_cvt_pk_fp8_f32 v50, v56, v57                             // 000000004F98: D2A20032 00027338
	v_cvt_pk_fp8_f32 v50, v58, v59 op_sel:[0,0,1]              // 000000004FA0: D2A24032 0002773A
	v_cvt_pk_fp8_f32 v51, v60, v61                             // 000000004FA8: D2A20033 00027B3C
	v_cvt_pk_fp8_f32 v51, v62, v63 op_sel:[0,0,1]              // 000000004FB0: D2A24033 00027F3E
	v_cvt_pk_fp8_f32 v52, v64, v65                             // 000000004FB8: D2A20034 00028340
	v_cvt_pk_fp8_f32 v52, v66, v67 op_sel:[0,0,1]              // 000000004FC0: D2A24034 00028742
	v_cvt_pk_fp8_f32 v53, v68, v69                             // 000000004FC8: D2A20035 00028B44
	v_cvt_pk_fp8_f32 v53, v70, v71 op_sel:[0,0,1]              // 000000004FD0: D2A24035 00028F46
	v_cvt_pk_fp8_f32 v54, v72, v73                             // 000000004FD8: D2A20036 00029348
	v_cvt_pk_fp8_f32 v54, v74, v75 op_sel:[0,0,1]              // 000000004FE0: D2A24036 0002974A
	v_cvt_pk_fp8_f32 v55, v76, v77                             // 000000004FE8: D2A20037 00029B4C
	v_cvt_pk_fp8_f32 v55, v78, v79 op_sel:[0,0,1]              // 000000004FF0: D2A24037 00029F4E
	s_nop 0                                                    // 000000004FF8: BF800000
	v_mov_b32_e32 v21, v20                                     // 000000004FFC: 7E2A0314
	v_mul_f32_e32 v112, v20, v112                              // 000000005000: 0AE0E114
	v_mul_f32_e32 v113, v20, v113                              // 000000005004: 0AE2E314
	v_pk_mul_f32 v[114:115], v[20:21], v[114:115]              // 000000005008: D3B14072 1802E514
	v_pk_mul_f32 v[116:117], v[20:21], v[116:117]              // 000000005010: D3B14074 1802E914
	v_pk_mul_f32 v[118:119], v[20:21], v[118:119]              // 000000005018: D3B14076 1802ED14
	v_pk_mul_f32 v[120:121], v[20:21], v[120:121]              // 000000005020: D3B14078 1802F114
	v_pk_mul_f32 v[122:123], v[20:21], v[122:123]              // 000000005028: D3B1407A 1802F514
	v_pk_mul_f32 v[124:125], v[20:21], v[124:125]              // 000000005030: D3B1407C 1802F914
	v_pk_mul_f32 v[126:127], v[20:21], v[126:127]              // 000000005038: D3B1407E 1802FD14
	v_pk_mul_f32 v[128:129], v[20:21], v[128:129]              // 000000005040: D3B14080 18030114
	v_pk_mul_f32 v[130:131], v[20:21], v[130:131]              // 000000005048: D3B14082 18030514
	v_pk_mul_f32 v[132:133], v[20:21], v[132:133]              // 000000005050: D3B14084 18030914
	v_pk_mul_f32 v[134:135], v[20:21], v[134:135]              // 000000005058: D3B14086 18030D14
	v_pk_mul_f32 v[136:137], v[20:21], v[136:137]              // 000000005060: D3B14088 18031114
	v_pk_mul_f32 v[138:139], v[20:21], v[138:139]              // 000000005068: D3B1408A 18031514
	v_pk_mul_f32 v[140:141], v[20:21], v[140:141]              // 000000005070: D3B1408C 18031914
	v_pk_mul_f32 v[142:143], v[20:21], v[142:143]              // 000000005078: D3B1408E 18031D14
	v_pk_mul_f32 v[144:145], v[20:21], v[144:145]              // 000000005080: D3B14090 18032114
	v_pk_mul_f32 v[146:147], v[20:21], v[146:147]              // 000000005088: D3B14092 18032514
	v_pk_mul_f32 v[148:149], v[20:21], v[148:149]              // 000000005090: D3B14094 18032914
	v_pk_mul_f32 v[150:151], v[20:21], v[150:151]              // 000000005098: D3B14096 18032D14
	v_pk_mul_f32 v[152:153], v[20:21], v[152:153]              // 0000000050A0: D3B14098 18033114
	v_pk_mul_f32 v[154:155], v[20:21], v[154:155]              // 0000000050A8: D3B1409A 18033514
	v_pk_mul_f32 v[156:157], v[20:21], v[156:157]              // 0000000050B0: D3B1409C 18033914
	v_pk_mul_f32 v[158:159], v[20:21], v[158:159]              // 0000000050B8: D3B1409E 18033D14
	v_pk_mul_f32 v[160:161], v[20:21], v[160:161]              // 0000000050C0: D3B140A0 18034114
	v_pk_mul_f32 v[162:163], v[20:21], v[162:163]              // 0000000050C8: D3B140A2 18034514
	v_pk_mul_f32 v[164:165], v[20:21], v[164:165]              // 0000000050D0: D3B140A4 18034914
	v_pk_mul_f32 v[166:167], v[20:21], v[166:167]              // 0000000050D8: D3B140A6 18034D14
	v_pk_mul_f32 v[168:169], v[20:21], v[168:169]              // 0000000050E0: D3B140A8 18035114
	v_pk_mul_f32 v[170:171], v[20:21], v[170:171]              // 0000000050E8: D3B140AA 18035514
	v_pk_mul_f32 v[172:173], v[20:21], v[172:173]              // 0000000050F0: D3B140AC 18035914
	v_pk_mul_f32 v[174:175], v[20:21], v[174:175]              // 0000000050F8: D3B140AE 18035D14
	s_barrier                                                  // 000000005100: BF8A0000
	ds_write_b32 v14, v232 offset:17408                        // 000000005104: D81A4400 0000E80E
	ds_write_b32 v14, v233 offset:19488                        // 00000000510C: D81A4C20 0000E90E
	ds_write_b32 v14, v234 offset:21568                        // 000000005114: D81A5440 0000EA0E
	ds_write_b32 v14, v235 offset:23648                        // 00000000511C: D81A5C60 0000EB0E
	s_waitcnt lgkmcnt(0)                                       // 000000005124: BF8CC07F
	s_barrier                                                  // 000000005128: BF8A0000
	s_mov_b32 m0, s55                                          // 00000000512C: BEFC0037
	ds_read_b32 v192, v13 offset:17408                         // 000000005130: D86C4400 C000000D
	ds_read_b32 v193, v13 offset:17664                         // 000000005138: D86C4500 C100000D
	ds_read_b32 v194, v13 offset:17920                         // 000000005140: D86C4600 C200000D
	ds_read_b32 v195, v13 offset:18176                         // 000000005148: D86C4700 C300000D
	buffer_load_dword v4, s[12:15], s57 offen lds              // 000000005150: E0511000 39030004
	s_add_u32 m0, 0x880, m0                                    // 000000005158: 807C7CFF 00000880
	ds_read_b32 v196, v13 offset:18432                         // 000000005160: D86C4800 C400000D
	ds_read_b32 v197, v13 offset:18688                         // 000000005168: D86C4900 C500000D
	ds_read_b32 v198, v13 offset:18944                         // 000000005170: D86C4A00 C600000D
	ds_read_b32 v199, v13 offset:19200                         // 000000005178: D86C4B00 C700000D
	buffer_load_dword v5, s[12:15], s57 offen lds              // 000000005180: E0511000 39030005
	s_add_u32 m0, 0x880, m0                                    // 000000005188: 807C7CFF 00000880
	ds_read_b32 v200, v13 offset:17440                         // 000000005190: D86C4420 C800000D
	ds_read_b32 v201, v13 offset:17696                         // 000000005198: D86C4520 C900000D
	ds_read_b32 v202, v13 offset:17952                         // 0000000051A0: D86C4620 CA00000D
	ds_read_b32 v203, v13 offset:18208                         // 0000000051A8: D86C4720 CB00000D
	buffer_load_dword v6, s[12:15], s57 offen lds              // 0000000051B0: E0511000 39030006
	s_add_u32 m0, 0x880, m0                                    // 0000000051B8: 807C7CFF 00000880
	ds_read_b32 v204, v13 offset:18464                         // 0000000051C0: D86C4820 CC00000D
	ds_read_b32 v205, v13 offset:18720                         // 0000000051C8: D86C4920 CD00000D
	ds_read_b32 v206, v13 offset:18976                         // 0000000051D0: D86C4A20 CE00000D
	ds_read_b32 v207, v13 offset:19232                         // 0000000051D8: D86C4B20 CF00000D
	buffer_load_dword v7, s[12:15], s57 offen lds              // 0000000051E0: E0511000 39030007
	s_add_u32 m0, 0x880, m0                                    // 0000000051E8: 807C7CFF 00000880
	ds_read_b32 v208, v13 offset:17472                         // 0000000051F0: D86C4440 D000000D
	ds_read_b32 v209, v13 offset:17728                         // 0000000051F8: D86C4540 D100000D
	ds_read_b32 v210, v13 offset:17984                         // 000000005200: D86C4640 D200000D
	ds_read_b32 v211, v13 offset:18240                         // 000000005208: D86C4740 D300000D
	ds_read_b32 v212, v13 offset:18496                         // 000000005210: D86C4840 D400000D
	ds_read_b32 v213, v13 offset:18752                         // 000000005218: D86C4940 D500000D
	ds_read_b32 v214, v13 offset:19008                         // 000000005220: D86C4A40 D600000D
	ds_read_b32 v215, v13 offset:19264                         // 000000005228: D86C4B40 D700000D
	ds_read_b32 v216, v13 offset:17504                         // 000000005230: D86C4460 D800000D
	ds_read_b32 v217, v13 offset:17760                         // 000000005238: D86C4560 D900000D
	ds_read_b32 v218, v13 offset:18016                         // 000000005240: D86C4660 DA00000D
	ds_read_b32 v219, v13 offset:18272                         // 000000005248: D86C4760 DB00000D
	ds_read_b32 v220, v13 offset:18528                         // 000000005250: D86C4860 DC00000D
	ds_read_b32 v221, v13 offset:18784                         // 000000005258: D86C4960 DD00000D
	ds_read_b32 v222, v13 offset:19040                         // 000000005260: D86C4A60 DE00000D
	ds_read_b32 v223, v13 offset:19296                         // 000000005268: D86C4B60 DF00000D
	s_add_i32 s57, s64, s57                                    // 000000005270: 81393940
	s_add_u32 s34, 0x100, s63                                  // 000000005274: 80223FFF 00000100
	s_cmp_lt_u32 s34, s62                                      // 00000000527C: BF0A3E22
	s_cselect_b32 s64, s64, 0                                  // 000000005280: 85408040
	s_nop 0                                                    // 000000005284: BF800000
	s_cmp_lt_i32 s72, s71                                      // 000000005288: BF044748
	s_cbranch_scc1 label_06F0                                  // 00000000528C: BF85010C
	s_sub_i32 s34, s71, s72                                    // 000000005290: 81A24847
	s_sub_i32 s35, s7, s29                                     // 000000005294: 81A31D07
	s_and_b32 s35, s35, 63                                     // 000000005298: 8623BF23
	s_add_i32 s34, s34, s35                                    // 00000000529C: 81222322
	v_add_i32 v16, v29, s34                                    // 0000000052A0: D29C0010 0000451D
	v_cmp_lt_i32_e64 s[50:51], v16, 0                          // 0000000052A8: D0C10032 00010110
	v_cmp_lt_i32_e64 s[52:53], v16, 1                          // 0000000052B0: D0C10034 00010310
	v_cndmask_b32_e64 v80, v80, v31, s[50:51]                  // 0000000052B8: D1000050 00CA3F50
	v_cndmask_b32_e64 v81, v81, v31, s[52:53]                  // 0000000052C0: D1000051 00D23F51
	v_cmp_lt_i32_e64 s[50:51], v16, 2                          // 0000000052C8: D0C10032 00010510
	v_cmp_lt_i32_e64 s[52:53], v16, 3                          // 0000000052D0: D0C10034 00010710
	v_cndmask_b32_e64 v82, v82, v31, s[50:51]                  // 0000000052D8: D1000052 00CA3F52
	v_cndmask_b32_e64 v83, v83, v31, s[52:53]                  // 0000000052E0: D1000053 00D23F53
	v_cmp_lt_i32_e64 s[50:51], v16, 8                          // 0000000052E8: D0C10032 00011110
	v_cmp_lt_i32_e64 s[52:53], v16, 9                          // 0000000052F0: D0C10034 00011310
	v_cndmask_b32_e64 v84, v84, v31, s[50:51]                  // 0000000052F8: D1000054 00CA3F54
	v_cndmask_b32_e64 v85, v85, v31, s[52:53]                  // 000000005300: D1000055 00D23F55
	v_cmp_lt_i32_e64 s[50:51], v16, 10                         // 000000005308: D0C10032 00011510
	v_cmp_lt_i32_e64 s[52:53], v16, 11                         // 000000005310: D0C10034 00011710
	v_cndmask_b32_e64 v86, v86, v31, s[50:51]                  // 000000005318: D1000056 00CA3F56
	v_cndmask_b32_e64 v87, v87, v31, s[52:53]                  // 000000005320: D1000057 00D23F57
	v_cmp_lt_i32_e64 s[50:51], v16, 16                         // 000000005328: D0C10032 00012110
	v_cmp_lt_i32_e64 s[52:53], v16, 17                         // 000000005330: D0C10034 00012310
	v_cndmask_b32_e64 v88, v88, v31, s[50:51]                  // 000000005338: D1000058 00CA3F58
	v_cndmask_b32_e64 v89, v89, v31, s[52:53]                  // 000000005340: D1000059 00D23F59
	v_cmp_lt_i32_e64 s[50:51], v16, 18                         // 000000005348: D0C10032 00012510
	v_cmp_lt_i32_e64 s[52:53], v16, 19                         // 000000005350: D0C10034 00012710
	v_cndmask_b32_e64 v90, v90, v31, s[50:51]                  // 000000005358: D100005A 00CA3F5A
	v_cndmask_b32_e64 v91, v91, v31, s[52:53]                  // 000000005360: D100005B 00D23F5B
	v_cmp_lt_i32_e64 s[50:51], v16, 24                         // 000000005368: D0C10032 00013110
	v_cmp_lt_i32_e64 s[52:53], v16, 25                         // 000000005370: D0C10034 00013310
	v_cndmask_b32_e64 v92, v92, v31, s[50:51]                  // 000000005378: D100005C 00CA3F5C
	v_cndmask_b32_e64 v93, v93, v31, s[52:53]                  // 000000005380: D100005D 00D23F5D
	v_cmp_lt_i32_e64 s[50:51], v16, 26                         // 000000005388: D0C10032 00013510
	v_cmp_lt_i32_e64 s[52:53], v16, 27                         // 000000005390: D0C10034 00013710
	v_cndmask_b32_e64 v94, v94, v31, s[50:51]                  // 000000005398: D100005E 00CA3F5E
	v_cndmask_b32_e64 v95, v95, v31, s[52:53]                  // 0000000053A0: D100005F 00D23F5F
	v_cmp_lt_i32_e64 s[50:51], v16, 32                         // 0000000053A8: D0C10032 00014110
	v_cmp_lt_i32_e64 s[52:53], v16, 33                         // 0000000053B0: D0C10034 00014310
	v_cndmask_b32_e64 v96, v96, v31, s[50:51]                  // 0000000053B8: D1000060 00CA3F60
	v_cndmask_b32_e64 v97, v97, v31, s[52:53]                  // 0000000053C0: D1000061 00D23F61
	v_cmp_lt_i32_e64 s[50:51], v16, 34                         // 0000000053C8: D0C10032 00014510
	v_cmp_lt_i32_e64 s[52:53], v16, 35                         // 0000000053D0: D0C10034 00014710
	v_cndmask_b32_e64 v98, v98, v31, s[50:51]                  // 0000000053D8: D1000062 00CA3F62
	v_cndmask_b32_e64 v99, v99, v31, s[52:53]                  // 0000000053E0: D1000063 00D23F63
	v_cmp_lt_i32_e64 s[50:51], v16, 40                         // 0000000053E8: D0C10032 00015110
	v_cmp_lt_i32_e64 s[52:53], v16, 41                         // 0000000053F0: D0C10034 00015310
	v_cndmask_b32_e64 v100, v100, v31, s[50:51]                // 0000000053F8: D1000064 00CA3F64
	v_cndmask_b32_e64 v101, v101, v31, s[52:53]                // 000000005400: D1000065 00D23F65
	v_cmp_lt_i32_e64 s[50:51], v16, 42                         // 000000005408: D0C10032 00015510
	v_cmp_lt_i32_e64 s[52:53], v16, 43                         // 000000005410: D0C10034 00015710
	v_cndmask_b32_e64 v102, v102, v31, s[50:51]                // 000000005418: D1000066 00CA3F66
	v_cndmask_b32_e64 v103, v103, v31, s[52:53]                // 000000005420: D1000067 00D23F67
	v_cmp_lt_i32_e64 s[50:51], v16, 48                         // 000000005428: D0C10032 00016110
	v_cmp_lt_i32_e64 s[52:53], v16, 49                         // 000000005430: D0C10034 00016310
	v_cndmask_b32_e64 v104, v104, v31, s[50:51]                // 000000005438: D1000068 00CA3F68
	v_cndmask_b32_e64 v105, v105, v31, s[52:53]                // 000000005440: D1000069 00D23F69
	v_cmp_lt_i32_e64 s[50:51], v16, 50                         // 000000005448: D0C10032 00016510
	v_cmp_lt_i32_e64 s[52:53], v16, 51                         // 000000005450: D0C10034 00016710
	v_cndmask_b32_e64 v106, v106, v31, s[50:51]                // 000000005458: D100006A 00CA3F6A
	v_cndmask_b32_e64 v107, v107, v31, s[52:53]                // 000000005460: D100006B 00D23F6B
	v_cmp_lt_i32_e64 s[50:51], v16, 56                         // 000000005468: D0C10032 00017110
	v_cmp_lt_i32_e64 s[52:53], v16, 57                         // 000000005470: D0C10034 00017310
	v_cndmask_b32_e64 v108, v108, v31, s[50:51]                // 000000005478: D100006C 00CA3F6C
	v_cndmask_b32_e64 v109, v109, v31, s[52:53]                // 000000005480: D100006D 00D23F6D
	v_cmp_lt_i32_e64 s[50:51], v16, 58                         // 000000005488: D0C10032 00017510
	v_cmp_lt_i32_e64 s[52:53], v16, 59                         // 000000005490: D0C10034 00017710
	v_cndmask_b32_e64 v110, v110, v31, s[50:51]                // 000000005498: D100006E 00CA3F6E
	v_cndmask_b32_e64 v111, v111, v31, s[52:53]                // 0000000054A0: D100006F 00D23F6F
	s_nop 0                                                    // 0000000054A8: BF800000
	s_cmp_lt_i32 s72, s76                                      // 0000000054AC: BF044C48
	s_cbranch_scc1 label_06F0                                  // 0000000054B0: BF850083
	s_sub_i32 s34, s7, s72                                     // 0000000054B4: 81A24807
	v_sub_i32 v16, s34, v30                                    // 0000000054B8: D29D0010 00023C22
	v_cmp_lt_i32_e64 s[50:51], 0, v16                          // 0000000054C0: D0C10032 00022080
	v_cmp_lt_i32_e64 s[52:53], 1, v16                          // 0000000054C8: D0C10034 00022081
	v_cndmask_b32_e64 v80, v31, v80, s[50:51]                  // 0000000054D0: D1000050 00CAA11F
	v_cndmask_b32_e64 v81, v31, v81, s[52:53]                  // 0000000054D8: D1000051 00D2A31F
	v_cmp_lt_i32_e64 s[50:51], 2, v16                          // 0000000054E0: D0C10032 00022082
	v_cmp_lt_i32_e64 s[52:53], 3, v16                          // 0000000054E8: D0C10034 00022083
	v_cndmask_b32_e64 v82, v31, v82, s[50:51]                  // 0000000054F0: D1000052 00CAA51F
	v_cndmask_b32_e64 v83, v31, v83, s[52:53]                  // 0000000054F8: D1000053 00D2A71F
	v_cmp_lt_i32_e64 s[50:51], 8, v16                          // 000000005500: D0C10032 00022088
	v_cmp_lt_i32_e64 s[52:53], 9, v16                          // 000000005508: D0C10034 00022089
	v_cndmask_b32_e64 v84, v31, v84, s[50:51]                  // 000000005510: D1000054 00CAA91F
	v_cndmask_b32_e64 v85, v31, v85, s[52:53]                  // 000000005518: D1000055 00D2AB1F
	v_cmp_lt_i32_e64 s[50:51], 10, v16                         // 000000005520: D0C10032 0002208A
	v_cmp_lt_i32_e64 s[52:53], 11, v16                         // 000000005528: D0C10034 0002208B
	v_cndmask_b32_e64 v86, v31, v86, s[50:51]                  // 000000005530: D1000056 00CAAD1F
	v_cndmask_b32_e64 v87, v31, v87, s[52:53]                  // 000000005538: D1000057 00D2AF1F
	v_cmp_lt_i32_e64 s[50:51], 16, v16                         // 000000005540: D0C10032 00022090
	v_cmp_lt_i32_e64 s[52:53], 17, v16                         // 000000005548: D0C10034 00022091
	v_cndmask_b32_e64 v88, v31, v88, s[50:51]                  // 000000005550: D1000058 00CAB11F
	v_cndmask_b32_e64 v89, v31, v89, s[52:53]                  // 000000005558: D1000059 00D2B31F
	v_cmp_lt_i32_e64 s[50:51], 18, v16                         // 000000005560: D0C10032 00022092
	v_cmp_lt_i32_e64 s[52:53], 19, v16                         // 000000005568: D0C10034 00022093
	v_cndmask_b32_e64 v90, v31, v90, s[50:51]                  // 000000005570: D100005A 00CAB51F
	v_cndmask_b32_e64 v91, v31, v91, s[52:53]                  // 000000005578: D100005B 00D2B71F
	v_cmp_lt_i32_e64 s[50:51], 24, v16                         // 000000005580: D0C10032 00022098
	v_cmp_lt_i32_e64 s[52:53], 25, v16                         // 000000005588: D0C10034 00022099
	v_cndmask_b32_e64 v92, v31, v92, s[50:51]                  // 000000005590: D100005C 00CAB91F
	v_cndmask_b32_e64 v93, v31, v93, s[52:53]                  // 000000005598: D100005D 00D2BB1F
	v_cmp_lt_i32_e64 s[50:51], 26, v16                         // 0000000055A0: D0C10032 0002209A
	v_cmp_lt_i32_e64 s[52:53], 27, v16                         // 0000000055A8: D0C10034 0002209B
	v_cndmask_b32_e64 v94, v31, v94, s[50:51]                  // 0000000055B0: D100005E 00CABD1F
	v_cndmask_b32_e64 v95, v31, v95, s[52:53]                  // 0000000055B8: D100005F 00D2BF1F
	v_cmp_lt_i32_e64 s[50:51], 32, v16                         // 0000000055C0: D0C10032 000220A0
	v_cmp_lt_i32_e64 s[52:53], 33, v16                         // 0000000055C8: D0C10034 000220A1
	v_cndmask_b32_e64 v96, v31, v96, s[50:51]                  // 0000000055D0: D1000060 00CAC11F
	v_cndmask_b32_e64 v97, v31, v97, s[52:53]                  // 0000000055D8: D1000061 00D2C31F
	v_cmp_lt_i32_e64 s[50:51], 34, v16                         // 0000000055E0: D0C10032 000220A2
	v_cmp_lt_i32_e64 s[52:53], 35, v16                         // 0000000055E8: D0C10034 000220A3
	v_cndmask_b32_e64 v98, v31, v98, s[50:51]                  // 0000000055F0: D1000062 00CAC51F
	v_cndmask_b32_e64 v99, v31, v99, s[52:53]                  // 0000000055F8: D1000063 00D2C71F
	v_cmp_lt_i32_e64 s[50:51], 40, v16                         // 000000005600: D0C10032 000220A8
	v_cmp_lt_i32_e64 s[52:53], 41, v16                         // 000000005608: D0C10034 000220A9
	v_cndmask_b32_e64 v100, v31, v100, s[50:51]                // 000000005610: D1000064 00CAC91F
	v_cndmask_b32_e64 v101, v31, v101, s[52:53]                // 000000005618: D1000065 00D2CB1F
	v_cmp_lt_i32_e64 s[50:51], 42, v16                         // 000000005620: D0C10032 000220AA
	v_cmp_lt_i32_e64 s[52:53], 43, v16                         // 000000005628: D0C10034 000220AB
	v_cndmask_b32_e64 v102, v31, v102, s[50:51]                // 000000005630: D1000066 00CACD1F
	v_cndmask_b32_e64 v103, v31, v103, s[52:53]                // 000000005638: D1000067 00D2CF1F
	v_cmp_lt_i32_e64 s[50:51], 48, v16                         // 000000005640: D0C10032 000220B0
	v_cmp_lt_i32_e64 s[52:53], 49, v16                         // 000000005648: D0C10034 000220B1
	v_cndmask_b32_e64 v104, v31, v104, s[50:51]                // 000000005650: D1000068 00CAD11F
	v_cndmask_b32_e64 v105, v31, v105, s[52:53]                // 000000005658: D1000069 00D2D31F
	v_cmp_lt_i32_e64 s[50:51], 50, v16                         // 000000005660: D0C10032 000220B2
	v_cmp_lt_i32_e64 s[52:53], 51, v16                         // 000000005668: D0C10034 000220B3
	v_cndmask_b32_e64 v106, v31, v106, s[50:51]                // 000000005670: D100006A 00CAD51F
	v_cndmask_b32_e64 v107, v31, v107, s[52:53]                // 000000005678: D100006B 00D2D71F
	v_cmp_lt_i32_e64 s[50:51], 56, v16                         // 000000005680: D0C10032 000220B8
	v_cmp_lt_i32_e64 s[52:53], 57, v16                         // 000000005688: D0C10034 000220B9
	v_cndmask_b32_e64 v108, v31, v108, s[50:51]                // 000000005690: D100006C 00CAD91F
	v_cndmask_b32_e64 v109, v31, v109, s[52:53]                // 000000005698: D100006D 00D2DB1F
	v_cmp_lt_i32_e64 s[50:51], 58, v16                         // 0000000056A0: D0C10032 000220BA
	v_cmp_lt_i32_e64 s[52:53], 59, v16                         // 0000000056A8: D0C10034 000220BB
	v_cndmask_b32_e64 v110, v31, v110, s[50:51]                // 0000000056B0: D100006E 00CADD1F
	v_cndmask_b32_e64 v111, v31, v111, s[52:53]                // 0000000056B8: D100006F 00D2DF1F

00000000000056c0 <label_06F0>:
	s_waitcnt lgkmcnt(0)                                       // 0000000056C0: BF8CC07F
	s_barrier                                                  // 0000000056C4: BF8A0000
	v_mfma_f32_32x32x16_fp8_fp8 v[112:127], v[192:193], v[48:49], v[112:127]// 0000000056C8: D3F70070 05C261C0
	v_max3_f32 v25, v80, v81, v28                              // 0000000056D0: D1D30019 0472A350
	v_max3_f32 v25, v82, v83, v25                              // 0000000056D8: D1D30019 0466A752
	v_max3_f32 v25, v84, v85, v25                              // 0000000056E0: D1D30019 0466AB54
	v_max3_f32 v25, v86, v87, v25                              // 0000000056E8: D1D30019 0466AF56
	v_max3_f32 v25, v88, v89, v25                              // 0000000056F0: D1D30019 0466B358
	v_max3_f32 v25, v90, v91, v25                              // 0000000056F8: D1D30019 0466B75A
	v_max3_f32 v25, v92, v93, v25                              // 000000005700: D1D30019 0466BB5C
	v_mfma_f32_32x32x16_fp8_fp8 v[112:127], v[194:195], v[50:51], v[112:127]// 000000005708: D3F70070 05C265C2
	v_max3_f32 v25, v94, v95, v25                              // 000000005710: D1D30019 0466BF5E
	v_max3_f32 v25, v96, v97, v25                              // 000000005718: D1D30019 0466C360
	v_max3_f32 v25, v98, v99, v25                              // 000000005720: D1D30019 0466C762
	v_max3_f32 v25, v100, v101, v25                            // 000000005728: D1D30019 0466CB64
	v_max3_f32 v25, v102, v103, v25                            // 000000005730: D1D30019 0466CF66
	v_max3_f32 v25, v104, v105, v25                            // 000000005738: D1D30019 0466D368
	v_max3_f32 v25, v106, v107, v25                            // 000000005740: D1D30019 0466D76A
	v_mfma_f32_32x32x16_fp8_fp8 v[112:127], v[196:197], v[52:53], v[112:127]// 000000005748: D3F70070 05C269C4
	v_max3_f32 v25, v108, v109, v25                            // 000000005750: D1D30019 0466DB6C
	v_max3_f32 v25, v110, v111, v25                            // 000000005758: D1D30019 0466DF6E
	ds_permute_b32 v24, v32, v25                               // 000000005760: D87C0000 18001920
	v_mfma_f32_32x32x16_fp8_fp8 v[112:127], v[198:199], v[54:55], v[112:127]// 000000005768: D3F70070 05C26DC6
	v_nop                                                      // 000000005770: 7E000000
	s_nop 0                                                    // 000000005774: BF800000
	v_mfma_f32_32x32x16_fp8_fp8 v[128:143], v[200:201], v[48:49], v[128:143]// 000000005778: D3F70080 060261C8
	v_nop                                                      // 000000005780: 7E000000
	v_mfma_f32_32x32x16_fp8_fp8 v[128:143], v[202:203], v[50:51], v[128:143]// 000000005784: D3F70080 060265CA
	s_waitcnt lgkmcnt(0)                                       // 00000000578C: BF8CC07F
	v_max_f32_e32 v25, v24, v25                                // 000000005790: 16323318
	v_sub_f32_e32 v20, v28, v25                                // 000000005794: 0428331C
	v_mov_b32_e32 v28, v25                                     // 000000005798: 7E380319
	v_mul_f32_e32 v27, s74, v25                                // 00000000579C: 0A36324A
	v_mul_f32_e32 v20, s74, v20                                // 0000000057A0: 0A28284A
	v_mfma_f32_32x32x16_fp8_fp8 v[128:143], v[204:205], v[52:53], v[128:143]// 0000000057A4: D3F70080 060269CC
	v_exp_f32_e32 v20, v20                                     // 0000000057AC: 7E284114
	v_fma_f32 v80, v80, s74, -v27                              // 0000000057B0: D1CB0050 846C9550
	v_fma_f32 v81, v81, s74, -v27                              // 0000000057B8: D1CB0051 846C9551
	v_fma_f32 v82, v82, s74, -v27                              // 0000000057C0: D1CB0052 846C9552
	v_mfma_f32_32x32x16_fp8_fp8 v[128:143], v[206:207], v[54:55], v[128:143]// 0000000057C8: D3F70080 06026DCE
	v_fma_f32 v83, v83, s74, -v27                              // 0000000057D0: D1CB0053 846C9553
	v_fma_f32 v84, v84, s74, -v27                              // 0000000057D8: D1CB0054 846C9554
	v_fma_f32 v85, v85, s74, -v27                              // 0000000057E0: D1CB0055 846C9555
	v_fma_f32 v86, v86, s74, -v27                              // 0000000057E8: D1CB0056 846C9556
	v_fma_f32 v87, v87, s74, -v27                              // 0000000057F0: D1CB0057 846C9557
	v_fma_f32 v88, v88, s74, -v27                              // 0000000057F8: D1CB0058 846C9558
	v_fma_f32 v89, v89, s74, -v27                              // 000000005800: D1CB0059 846C9559
	v_mfma_f32_32x32x16_fp8_fp8 v[144:159], v[208:209], v[48:49], v[144:159]// 000000005808: D3F70090 064261D0
	v_fma_f32 v90, v90, s74, -v27                              // 000000005810: D1CB005A 846C955A
	v_fma_f32 v91, v91, s74, -v27                              // 000000005818: D1CB005B 846C955B
	v_fma_f32 v92, v92, s74, -v27                              // 000000005820: D1CB005C 846C955C
	v_fma_f32 v93, v93, s74, -v27                              // 000000005828: D1CB005D 846C955D
	v_fma_f32 v94, v94, s74, -v27                              // 000000005830: D1CB005E 846C955E
	v_fma_f32 v95, v95, s74, -v27                              // 000000005838: D1CB005F 846C955F
	v_fma_f32 v96, v96, s74, -v27                              // 000000005840: D1CB0060 846C9560
	v_mfma_f32_32x32x16_fp8_fp8 v[144:159], v[210:211], v[50:51], v[144:159]// 000000005848: D3F70090 064265D2
	v_fma_f32 v97, v97, s74, -v27                              // 000000005850: D1CB0061 846C9561
	v_fma_f32 v98, v98, s74, -v27                              // 000000005858: D1CB0062 846C9562
	v_fma_f32 v99, v99, s74, -v27                              // 000000005860: D1CB0063 846C9563
	v_fma_f32 v100, v100, s74, -v27                            // 000000005868: D1CB0064 846C9564
	v_fma_f32 v101, v101, s74, -v27                            // 000000005870: D1CB0065 846C9565
	v_fma_f32 v102, v102, s74, -v27                            // 000000005878: D1CB0066 846C9566
	v_fma_f32 v103, v103, s74, -v27                            // 000000005880: D1CB0067 846C9567
	v_mfma_f32_32x32x16_fp8_fp8 v[144:159], v[212:213], v[52:53], v[144:159]// 000000005888: D3F70090 064269D4
	v_fma_f32 v104, v104, s74, -v27                            // 000000005890: D1CB0068 846C9568
	v_fma_f32 v105, v105, s74, -v27                            // 000000005898: D1CB0069 846C9569
	v_fma_f32 v106, v106, s74, -v27                            // 0000000058A0: D1CB006A 846C956A
	v_fma_f32 v107, v107, s74, -v27                            // 0000000058A8: D1CB006B 846C956B
	v_fma_f32 v108, v108, s74, -v27                            // 0000000058B0: D1CB006C 846C956C
	v_fma_f32 v109, v109, s74, -v27                            // 0000000058B8: D1CB006D 846C956D
	v_fma_f32 v110, v110, s74, -v27                            // 0000000058C0: D1CB006E 846C956E
	v_mfma_f32_32x32x16_fp8_fp8 v[144:159], v[214:215], v[54:55], v[144:159]// 0000000058C8: D3F70090 06426DD6
	v_fma_f32 v111, v111, s74, -v27                            // 0000000058D0: D1CB006F 846C956F
	v_exp_f32_e32 v80, v80                                     // 0000000058D8: 7EA04150
	v_exp_f32_e32 v81, v81                                     // 0000000058DC: 7EA24151
	v_mfma_f32_32x32x16_fp8_fp8 v[160:175], v[216:217], v[48:49], v[160:175]// 0000000058E0: D3F700A0 068261D8
	v_exp_f32_e32 v82, v82                                     // 0000000058E8: 7EA44152
	v_exp_f32_e32 v83, v83                                     // 0000000058EC: 7EA64153
	v_mfma_f32_32x32x16_fp8_fp8 v[160:175], v[218:219], v[50:51], v[160:175]// 0000000058F0: D3F700A0 068265DA
	v_exp_f32_e32 v84, v84                                     // 0000000058F8: 7EA84154
	v_exp_f32_e32 v85, v85                                     // 0000000058FC: 7EAA4155
	v_mfma_f32_32x32x16_fp8_fp8 v[160:175], v[220:221], v[52:53], v[160:175]// 000000005900: D3F700A0 068269DC
	v_exp_f32_e32 v86, v86                                     // 000000005908: 7EAC4156
	v_exp_f32_e32 v87, v87                                     // 00000000590C: 7EAE4157
	v_mfma_f32_32x32x16_fp8_fp8 v[160:175], v[222:223], v[54:55], v[160:175]// 000000005910: D3F700A0 06826DDE
	s_waitcnt vmcnt(8)                                         // 000000005918: BF8C0F78
	s_barrier                                                  // 00000000591C: BF8A0000
	ds_read_b128 v[192:195], v12                               // 000000005920: D9FE0000 C000000C
	ds_read_b128 v[196:199], v12 offset:32                     // 000000005928: D9FE0020 C400000C
	ds_read_b128 v[200:203], v12 offset:64                     // 000000005930: D9FE0040 C800000C
	ds_read_b128 v[204:207], v12 offset:96                     // 000000005938: D9FE0060 CC00000C
	s_nop 15                                                   // 000000005940: BF80000F
	s_nop 15                                                   // 000000005944: BF80000F
	s_nop 10                                                   // 000000005948: BF80000A
	buffer_load_dword v224, v8, s[16:19], s32 offen            // 00000000594C: E0501000 2004E008
	ds_read_b128 v[208:211], v12 offset:4352                   // 000000005954: D9FE1100 D000000C
	ds_read_b128 v[212:215], v12 offset:4384                   // 00000000595C: D9FE1120 D400000C
	buffer_load_dword v225, v9, s[16:19], s32 offen            // 000000005964: E0501000 2004E109
	ds_read_b128 v[216:219], v12 offset:4416                   // 00000000596C: D9FE1140 D800000C
	ds_read_b128 v[220:223], v12 offset:4448                   // 000000005974: D9FE1160 DC00000C
	buffer_load_dword v226, v10, s[16:19], s32 offen           // 00000000597C: E0501000 2004E20A
	buffer_load_dword v227, v11, s[16:19], s32 offen           // 000000005984: E0501000 2004E30B
	s_add_i32 s32, s65, s32                                    // 00000000598C: 81202041
	s_add_u32 s34, 0xc0, s63                                   // 000000005990: 80223FFF 000000C0
	s_nop 0                                                    // 000000005998: BF800000
	s_cmp_lt_u32 s34, s62                                      // 00000000599C: BF0A3E22
	s_cselect_b32 s65, s65, 0                                  // 0000000059A0: 85418041
	s_add_i32 s72, s72, s73                                    // 0000000059A4: 81484948
	s_addk_i32 s63, 0x40                                       // 0000000059A8: B73F0040
	s_cmp_lt_i32 s63, s62                                      // 0000000059AC: BF043E3F
	s_cbranch_scc0 label_10A2                                  // 0000000059B0: BF8408F5
	s_barrier                                                  // 0000000059B4: BF8A0000
	s_waitcnt lgkmcnt(0)                                       // 0000000059B8: BF8CC07F
	v_mfma_f32_32x32x16_fp8_fp8 v[48:63], v[192:193], v[176:177], 0// 0000000059BC: D3F70030 020361C0
	v_exp_f32_e32 v88, v88                                     // 0000000059C4: 7EB04158
	v_exp_f32_e32 v89, v89                                     // 0000000059C8: 7EB24159
	v_mfma_f32_32x32x16_fp8_fp8 v[48:63], v[194:195], v[178:179], v[48:63]// 0000000059CC: D3F70030 04C365C2
	v_exp_f32_e32 v90, v90                                     // 0000000059D4: 7EB4415A
	v_exp_f32_e32 v91, v91                                     // 0000000059D8: 7EB6415B
	v_mfma_f32_32x32x16_fp8_fp8 v[48:63], v[196:197], v[180:181], v[48:63]// 0000000059DC: D3F70030 04C369C4
	v_exp_f32_e32 v92, v92                                     // 0000000059E4: 7EB8415C
	v_exp_f32_e32 v93, v93                                     // 0000000059E8: 7EBA415D
	v_mfma_f32_32x32x16_fp8_fp8 v[48:63], v[198:199], v[182:183], v[48:63]// 0000000059EC: D3F70030 04C36DC6
	v_exp_f32_e32 v94, v94                                     // 0000000059F4: 7EBC415E
	v_exp_f32_e32 v95, v95                                     // 0000000059F8: 7EBE415F
	v_mfma_f32_32x32x16_fp8_fp8 v[48:63], v[200:201], v[184:185], v[48:63]// 0000000059FC: D3F70030 04C371C8
	v_exp_f32_e32 v96, v96                                     // 000000005A04: 7EC04160
	v_exp_f32_e32 v97, v97                                     // 000000005A08: 7EC24161
	v_mfma_f32_32x32x16_fp8_fp8 v[48:63], v[202:203], v[186:187], v[48:63]// 000000005A0C: D3F70030 04C375CA
	v_exp_f32_e32 v98, v98                                     // 000000005A14: 7EC44162
	v_exp_f32_e32 v99, v99                                     // 000000005A18: 7EC64163
	v_mfma_f32_32x32x16_fp8_fp8 v[48:63], v[204:205], v[188:189], v[48:63]// 000000005A1C: D3F70030 04C379CC
	v_exp_f32_e32 v100, v100                                   // 000000005A24: 7EC84164
	v_exp_f32_e32 v101, v101                                   // 000000005A28: 7ECA4165
	v_mfma_f32_32x32x16_fp8_fp8 v[48:63], v[206:207], v[190:191], v[48:63]// 000000005A2C: D3F70030 04C37DCE
	v_exp_f32_e32 v102, v102                                   // 000000005A34: 7ECC4166
	v_exp_f32_e32 v103, v103                                   // 000000005A38: 7ECE4167
	v_mfma_f32_32x32x16_fp8_fp8 v[64:79], v[208:209], v[176:177], 0// 000000005A3C: D3F70040 020361D0
	v_exp_f32_e32 v104, v104                                   // 000000005A44: 7ED04168
	v_exp_f32_e32 v105, v105                                   // 000000005A48: 7ED24169
	v_mfma_f32_32x32x16_fp8_fp8 v[64:79], v[210:211], v[178:179], v[64:79]// 000000005A4C: D3F70040 050365D2
	v_exp_f32_e32 v106, v106                                   // 000000005A54: 7ED4416A
	v_exp_f32_e32 v107, v107                                   // 000000005A58: 7ED6416B
	v_mfma_f32_32x32x16_fp8_fp8 v[64:79], v[212:213], v[180:181], v[64:79]// 000000005A5C: D3F70040 050369D4
	v_exp_f32_e32 v108, v108                                   // 000000005A64: 7ED8416C
	v_exp_f32_e32 v109, v109                                   // 000000005A68: 7EDA416D
	v_mfma_f32_32x32x16_fp8_fp8 v[64:79], v[214:215], v[182:183], v[64:79]// 000000005A6C: D3F70040 05036DD6
	s_waitcnt vmcnt(8)                                         // 000000005A74: BF8C0F78
	s_barrier                                                  // 000000005A78: BF8A0000
	v_mfma_f32_32x32x16_fp8_fp8 v[64:79], v[216:217], v[184:185], v[64:79]// 000000005A7C: D3F70040 050371D8
	v_exp_f32_e32 v110, v110                                   // 000000005A84: 7EDC416E
	v_exp_f32_e32 v111, v111                                   // 000000005A88: 7EDE416F
	v_mfma_f32_32x32x16_fp8_fp8 v[64:79], v[218:219], v[186:187], v[64:79]// 000000005A8C: D3F70040 050375DA
	v_mul_f32_e32 v22, v20, v22                                // 000000005A94: 0A2C2D14
	v_add_f32_e32 v38, v81, v80                                // 000000005A98: 024CA151
	v_add_f32_e32 v38, v82, v38                                // 000000005A9C: 024C4D52
	v_add_f32_e32 v38, v83, v38                                // 000000005AA0: 024C4D53
	v_mfma_f32_32x32x16_fp8_fp8 v[64:79], v[220:221], v[188:189], v[64:79]// 000000005AA4: D3F70040 050379DC
	v_add_f32_e32 v38, v84, v38                                // 000000005AAC: 024C4D54
	v_add_f32_e32 v38, v85, v38                                // 000000005AB0: 024C4D55
	v_add_f32_e32 v38, v86, v38                                // 000000005AB4: 024C4D56
	v_add_f32_e32 v38, v87, v38                                // 000000005AB8: 024C4D57
	v_add_f32_e32 v38, v88, v38                                // 000000005ABC: 024C4D58
	v_add_f32_e32 v38, v89, v38                                // 000000005AC0: 024C4D59
	v_add_f32_e32 v38, v90, v38                                // 000000005AC4: 024C4D5A
	v_mfma_f32_32x32x16_fp8_fp8 v[64:79], v[222:223], v[190:191], v[64:79]// 000000005AC8: D3F70040 05037DDE
	v_perm_b32 v16, v229, v228, s69                            // 000000005AD0: D1ED0010 0117C9E5
	v_perm_b32 v17, v229, v228, s70                            // 000000005AD8: D1ED0011 011BC9E5
	v_perm_b32 v18, v231, v230, s69                            // 000000005AE0: D1ED0012 0117CDE7
	v_perm_b32 v19, v231, v230, s70                            // 000000005AE8: D1ED0013 011BCDE7
	v_perm_b32 v232, v18, v16, s68                             // 000000005AF0: D1ED00E8 01122112
	v_perm_b32 v233, v18, v16, s67                             // 000000005AF8: D1ED00E9 010E2112
	v_perm_b32 v234, v19, v17, s68                             // 000000005B00: D1ED00EA 01122313
	v_perm_b32 v235, v19, v17, s67                             // 000000005B08: D1ED00EB 010E2313
	v_add_f32_e32 v38, v91, v38                                // 000000005B10: 024C4D5B
	v_add_f32_e32 v38, v92, v38                                // 000000005B14: 024C4D5C
	v_add_f32_e32 v38, v93, v38                                // 000000005B18: 024C4D5D
	v_add_f32_e32 v38, v94, v38                                // 000000005B1C: 024C4D5E
	v_add_f32_e32 v38, v95, v38                                // 000000005B20: 024C4D5F
	v_add_f32_e32 v38, v96, v38                                // 000000005B24: 024C4D60
	v_add_f32_e32 v38, v97, v38                                // 000000005B28: 024C4D61
	v_add_f32_e32 v38, v98, v38                                // 000000005B2C: 024C4D62
	v_add_f32_e32 v38, v99, v38                                // 000000005B30: 024C4D63
	v_add_f32_e32 v38, v100, v38                               // 000000005B34: 024C4D64
	v_add_f32_e32 v38, v101, v38                               // 000000005B38: 024C4D65
	v_add_f32_e32 v38, v102, v38                               // 000000005B3C: 024C4D66
	v_add_f32_e32 v38, v103, v38                               // 000000005B40: 024C4D67
	v_add_f32_e32 v38, v104, v38                               // 000000005B44: 024C4D68
	v_add_f32_e32 v38, v105, v38                               // 000000005B48: 024C4D69
	v_add_f32_e32 v38, v106, v38                               // 000000005B4C: 024C4D6A
	v_add_f32_e32 v38, v107, v38                               // 000000005B50: 024C4D6B
	v_add_f32_e32 v38, v108, v38                               // 000000005B54: 024C4D6C
	v_add_f32_e32 v38, v109, v38                               // 000000005B58: 024C4D6D
	v_add_f32_e32 v38, v110, v38                               // 000000005B5C: 024C4D6E
	v_add_f32_e32 v38, v111, v38                               // 000000005B60: 024C4D6F
	v_add_f32_e32 v22, v38, v22                                // 000000005B64: 022C2D26
	v_cvt_pk_fp8_f32 v80, v80, v81                             // 000000005B68: D2A20050 0002A350
	v_cvt_pk_fp8_f32 v80, v82, v83 op_sel:[0,0,1]              // 000000005B70: D2A24050 0002A752
	v_cvt_pk_fp8_f32 v81, v84, v85                             // 000000005B78: D2A20051 0002AB54
	v_cvt_pk_fp8_f32 v81, v86, v87 op_sel:[0,0,1]              // 000000005B80: D2A24051 0002AF56
	v_cvt_pk_fp8_f32 v82, v88, v89                             // 000000005B88: D2A20052 0002B358
	v_cvt_pk_fp8_f32 v82, v90, v91 op_sel:[0,0,1]              // 000000005B90: D2A24052 0002B75A
	v_cvt_pk_fp8_f32 v83, v92, v93                             // 000000005B98: D2A20053 0002BB5C
	v_cvt_pk_fp8_f32 v83, v94, v95 op_sel:[0,0,1]              // 000000005BA0: D2A24053 0002BF5E
	v_cvt_pk_fp8_f32 v84, v96, v97                             // 000000005BA8: D2A20054 0002C360
	v_cvt_pk_fp8_f32 v84, v98, v99 op_sel:[0,0,1]              // 000000005BB0: D2A24054 0002C762
	v_cvt_pk_fp8_f32 v85, v100, v101                           // 000000005BB8: D2A20055 0002CB64
	v_cvt_pk_fp8_f32 v85, v102, v103 op_sel:[0,0,1]            // 000000005BC0: D2A24055 0002CF66
	v_cvt_pk_fp8_f32 v86, v104, v105                           // 000000005BC8: D2A20056 0002D368
	v_cvt_pk_fp8_f32 v86, v106, v107 op_sel:[0,0,1]            // 000000005BD0: D2A24056 0002D76A
	v_cvt_pk_fp8_f32 v87, v108, v109                           // 000000005BD8: D2A20057 0002DB6C
	v_cvt_pk_fp8_f32 v87, v110, v111 op_sel:[0,0,1]            // 000000005BE0: D2A24057 0002DF6E
	s_nop 0                                                    // 000000005BE8: BF800000
	v_mov_b32_e32 v21, v20                                     // 000000005BEC: 7E2A0314
	v_mul_f32_e32 v112, v20, v112                              // 000000005BF0: 0AE0E114
	v_mul_f32_e32 v113, v20, v113                              // 000000005BF4: 0AE2E314
	v_pk_mul_f32 v[114:115], v[20:21], v[114:115]              // 000000005BF8: D3B14072 1802E514
	v_pk_mul_f32 v[116:117], v[20:21], v[116:117]              // 000000005C00: D3B14074 1802E914
	v_pk_mul_f32 v[118:119], v[20:21], v[118:119]              // 000000005C08: D3B14076 1802ED14
	v_pk_mul_f32 v[120:121], v[20:21], v[120:121]              // 000000005C10: D3B14078 1802F114
	v_pk_mul_f32 v[122:123], v[20:21], v[122:123]              // 000000005C18: D3B1407A 1802F514
	v_pk_mul_f32 v[124:125], v[20:21], v[124:125]              // 000000005C20: D3B1407C 1802F914
	v_pk_mul_f32 v[126:127], v[20:21], v[126:127]              // 000000005C28: D3B1407E 1802FD14
	v_pk_mul_f32 v[128:129], v[20:21], v[128:129]              // 000000005C30: D3B14080 18030114
	v_pk_mul_f32 v[130:131], v[20:21], v[130:131]              // 000000005C38: D3B14082 18030514
	v_pk_mul_f32 v[132:133], v[20:21], v[132:133]              // 000000005C40: D3B14084 18030914
	v_pk_mul_f32 v[134:135], v[20:21], v[134:135]              // 000000005C48: D3B14086 18030D14
	v_pk_mul_f32 v[136:137], v[20:21], v[136:137]              // 000000005C50: D3B14088 18031114
	v_pk_mul_f32 v[138:139], v[20:21], v[138:139]              // 000000005C58: D3B1408A 18031514
	v_pk_mul_f32 v[140:141], v[20:21], v[140:141]              // 000000005C60: D3B1408C 18031914
	v_pk_mul_f32 v[142:143], v[20:21], v[142:143]              // 000000005C68: D3B1408E 18031D14
	v_pk_mul_f32 v[144:145], v[20:21], v[144:145]              // 000000005C70: D3B14090 18032114
	v_pk_mul_f32 v[146:147], v[20:21], v[146:147]              // 000000005C78: D3B14092 18032514
	v_pk_mul_f32 v[148:149], v[20:21], v[148:149]              // 000000005C80: D3B14094 18032914
	v_pk_mul_f32 v[150:151], v[20:21], v[150:151]              // 000000005C88: D3B14096 18032D14
	v_pk_mul_f32 v[152:153], v[20:21], v[152:153]              // 000000005C90: D3B14098 18033114
	v_pk_mul_f32 v[154:155], v[20:21], v[154:155]              // 000000005C98: D3B1409A 18033514
	v_pk_mul_f32 v[156:157], v[20:21], v[156:157]              // 000000005CA0: D3B1409C 18033914
	v_pk_mul_f32 v[158:159], v[20:21], v[158:159]              // 000000005CA8: D3B1409E 18033D14
	v_pk_mul_f32 v[160:161], v[20:21], v[160:161]              // 000000005CB0: D3B140A0 18034114
	v_pk_mul_f32 v[162:163], v[20:21], v[162:163]              // 000000005CB8: D3B140A2 18034514
	v_pk_mul_f32 v[164:165], v[20:21], v[164:165]              // 000000005CC0: D3B140A4 18034914
	v_pk_mul_f32 v[166:167], v[20:21], v[166:167]              // 000000005CC8: D3B140A6 18034D14
	v_pk_mul_f32 v[168:169], v[20:21], v[168:169]              // 000000005CD0: D3B140A8 18035114
	v_pk_mul_f32 v[170:171], v[20:21], v[170:171]              // 000000005CD8: D3B140AA 18035514
	v_pk_mul_f32 v[172:173], v[20:21], v[172:173]              // 000000005CE0: D3B140AC 18035914
	v_pk_mul_f32 v[174:175], v[20:21], v[174:175]              // 000000005CE8: D3B140AE 18035D14
	s_barrier                                                  // 000000005CF0: BF8A0000
	ds_write_b32 v14, v232 offset:17408                        // 000000005CF4: D81A4400 0000E80E
	ds_write_b32 v14, v233 offset:19488                        // 000000005CFC: D81A4C20 0000E90E
	ds_write_b32 v14, v234 offset:21568                        // 000000005D04: D81A5440 0000EA0E
	ds_write_b32 v14, v235 offset:23648                        // 000000005D0C: D81A5C60 0000EB0E
	s_waitcnt lgkmcnt(0)                                       // 000000005D14: BF8CC07F
	s_barrier                                                  // 000000005D18: BF8A0000
	s_mov_b32 m0, s54                                          // 000000005D1C: BEFC0036
	ds_read_b32 v192, v13 offset:17408                         // 000000005D20: D86C4400 C000000D
	ds_read_b32 v193, v13 offset:17664                         // 000000005D28: D86C4500 C100000D
	ds_read_b32 v194, v13 offset:17920                         // 000000005D30: D86C4600 C200000D
	ds_read_b32 v195, v13 offset:18176                         // 000000005D38: D86C4700 C300000D
	buffer_load_dword v4, s[12:15], s57 offen lds              // 000000005D40: E0511000 39030004
	s_add_u32 m0, 0x880, m0                                    // 000000005D48: 807C7CFF 00000880
	ds_read_b32 v196, v13 offset:18432                         // 000000005D50: D86C4800 C400000D
	ds_read_b32 v197, v13 offset:18688                         // 000000005D58: D86C4900 C500000D
	ds_read_b32 v198, v13 offset:18944                         // 000000005D60: D86C4A00 C600000D
	ds_read_b32 v199, v13 offset:19200                         // 000000005D68: D86C4B00 C700000D
	buffer_load_dword v5, s[12:15], s57 offen lds              // 000000005D70: E0511000 39030005
	s_add_u32 m0, 0x880, m0                                    // 000000005D78: 807C7CFF 00000880
	ds_read_b32 v200, v13 offset:17440                         // 000000005D80: D86C4420 C800000D
	ds_read_b32 v201, v13 offset:17696                         // 000000005D88: D86C4520 C900000D
	ds_read_b32 v202, v13 offset:17952                         // 000000005D90: D86C4620 CA00000D
	ds_read_b32 v203, v13 offset:18208                         // 000000005D98: D86C4720 CB00000D
	buffer_load_dword v6, s[12:15], s57 offen lds              // 000000005DA0: E0511000 39030006
	s_add_u32 m0, 0x880, m0                                    // 000000005DA8: 807C7CFF 00000880
	ds_read_b32 v204, v13 offset:18464                         // 000000005DB0: D86C4820 CC00000D
	ds_read_b32 v205, v13 offset:18720                         // 000000005DB8: D86C4920 CD00000D
	ds_read_b32 v206, v13 offset:18976                         // 000000005DC0: D86C4A20 CE00000D
	ds_read_b32 v207, v13 offset:19232                         // 000000005DC8: D86C4B20 CF00000D
	buffer_load_dword v7, s[12:15], s57 offen lds              // 000000005DD0: E0511000 39030007
	s_add_u32 m0, 0x880, m0                                    // 000000005DD8: 807C7CFF 00000880
	ds_read_b32 v208, v13 offset:17472                         // 000000005DE0: D86C4440 D000000D
	ds_read_b32 v209, v13 offset:17728                         // 000000005DE8: D86C4540 D100000D
	ds_read_b32 v210, v13 offset:17984                         // 000000005DF0: D86C4640 D200000D
	ds_read_b32 v211, v13 offset:18240                         // 000000005DF8: D86C4740 D300000D
	ds_read_b32 v212, v13 offset:18496                         // 000000005E00: D86C4840 D400000D
	ds_read_b32 v213, v13 offset:18752                         // 000000005E08: D86C4940 D500000D
	ds_read_b32 v214, v13 offset:19008                         // 000000005E10: D86C4A40 D600000D
	ds_read_b32 v215, v13 offset:19264                         // 000000005E18: D86C4B40 D700000D
	ds_read_b32 v216, v13 offset:17504                         // 000000005E20: D86C4460 D800000D
	ds_read_b32 v217, v13 offset:17760                         // 000000005E28: D86C4560 D900000D
	ds_read_b32 v218, v13 offset:18016                         // 000000005E30: D86C4660 DA00000D
	ds_read_b32 v219, v13 offset:18272                         // 000000005E38: D86C4760 DB00000D
	ds_read_b32 v220, v13 offset:18528                         // 000000005E40: D86C4860 DC00000D
	ds_read_b32 v221, v13 offset:18784                         // 000000005E48: D86C4960 DD00000D
	ds_read_b32 v222, v13 offset:19040                         // 000000005E50: D86C4A60 DE00000D
	ds_read_b32 v223, v13 offset:19296                         // 000000005E58: D86C4B60 DF00000D
	s_add_i32 s57, s64, s57                                    // 000000005E60: 81393940
	s_add_u32 s34, 0x100, s63                                  // 000000005E64: 80223FFF 00000100
	s_cmp_lt_u32 s34, s62                                      // 000000005E6C: BF0A3E22
	s_cselect_b32 s64, s64, 0                                  // 000000005E70: 85408040
	s_nop 0                                                    // 000000005E74: BF800000
	s_cmp_lt_i32 s72, s71                                      // 000000005E78: BF044748
	s_cbranch_scc1 label_09EC                                  // 000000005E7C: BF85010C
	s_sub_i32 s34, s71, s72                                    // 000000005E80: 81A24847
	s_sub_i32 s35, s7, s29                                     // 000000005E84: 81A31D07
	s_and_b32 s35, s35, 63                                     // 000000005E88: 8623BF23
	s_add_i32 s34, s34, s35                                    // 000000005E8C: 81222322
	v_add_i32 v16, v29, s34                                    // 000000005E90: D29C0010 0000451D
	v_cmp_lt_i32_e64 s[50:51], v16, 0                          // 000000005E98: D0C10032 00010110
	v_cmp_lt_i32_e64 s[52:53], v16, 1                          // 000000005EA0: D0C10034 00010310
	v_cndmask_b32_e64 v48, v48, v31, s[50:51]                  // 000000005EA8: D1000030 00CA3F30
	v_cndmask_b32_e64 v49, v49, v31, s[52:53]                  // 000000005EB0: D1000031 00D23F31
	v_cmp_lt_i32_e64 s[50:51], v16, 2                          // 000000005EB8: D0C10032 00010510
	v_cmp_lt_i32_e64 s[52:53], v16, 3                          // 000000005EC0: D0C10034 00010710
	v_cndmask_b32_e64 v50, v50, v31, s[50:51]                  // 000000005EC8: D1000032 00CA3F32
	v_cndmask_b32_e64 v51, v51, v31, s[52:53]                  // 000000005ED0: D1000033 00D23F33
	v_cmp_lt_i32_e64 s[50:51], v16, 8                          // 000000005ED8: D0C10032 00011110
	v_cmp_lt_i32_e64 s[52:53], v16, 9                          // 000000005EE0: D0C10034 00011310
	v_cndmask_b32_e64 v52, v52, v31, s[50:51]                  // 000000005EE8: D1000034 00CA3F34
	v_cndmask_b32_e64 v53, v53, v31, s[52:53]                  // 000000005EF0: D1000035 00D23F35
	v_cmp_lt_i32_e64 s[50:51], v16, 10                         // 000000005EF8: D0C10032 00011510
	v_cmp_lt_i32_e64 s[52:53], v16, 11                         // 000000005F00: D0C10034 00011710
	v_cndmask_b32_e64 v54, v54, v31, s[50:51]                  // 000000005F08: D1000036 00CA3F36
	v_cndmask_b32_e64 v55, v55, v31, s[52:53]                  // 000000005F10: D1000037 00D23F37
	v_cmp_lt_i32_e64 s[50:51], v16, 16                         // 000000005F18: D0C10032 00012110
	v_cmp_lt_i32_e64 s[52:53], v16, 17                         // 000000005F20: D0C10034 00012310
	v_cndmask_b32_e64 v56, v56, v31, s[50:51]                  // 000000005F28: D1000038 00CA3F38
	v_cndmask_b32_e64 v57, v57, v31, s[52:53]                  // 000000005F30: D1000039 00D23F39
	v_cmp_lt_i32_e64 s[50:51], v16, 18                         // 000000005F38: D0C10032 00012510
	v_cmp_lt_i32_e64 s[52:53], v16, 19                         // 000000005F40: D0C10034 00012710
	v_cndmask_b32_e64 v58, v58, v31, s[50:51]                  // 000000005F48: D100003A 00CA3F3A
	v_cndmask_b32_e64 v59, v59, v31, s[52:53]                  // 000000005F50: D100003B 00D23F3B
	v_cmp_lt_i32_e64 s[50:51], v16, 24                         // 000000005F58: D0C10032 00013110
	v_cmp_lt_i32_e64 s[52:53], v16, 25                         // 000000005F60: D0C10034 00013310
	v_cndmask_b32_e64 v60, v60, v31, s[50:51]                  // 000000005F68: D100003C 00CA3F3C
	v_cndmask_b32_e64 v61, v61, v31, s[52:53]                  // 000000005F70: D100003D 00D23F3D
	v_cmp_lt_i32_e64 s[50:51], v16, 26                         // 000000005F78: D0C10032 00013510
	v_cmp_lt_i32_e64 s[52:53], v16, 27                         // 000000005F80: D0C10034 00013710
	v_cndmask_b32_e64 v62, v62, v31, s[50:51]                  // 000000005F88: D100003E 00CA3F3E
	v_cndmask_b32_e64 v63, v63, v31, s[52:53]                  // 000000005F90: D100003F 00D23F3F
	v_cmp_lt_i32_e64 s[50:51], v16, 32                         // 000000005F98: D0C10032 00014110
	v_cmp_lt_i32_e64 s[52:53], v16, 33                         // 000000005FA0: D0C10034 00014310
	v_cndmask_b32_e64 v64, v64, v31, s[50:51]                  // 000000005FA8: D1000040 00CA3F40
	v_cndmask_b32_e64 v65, v65, v31, s[52:53]                  // 000000005FB0: D1000041 00D23F41
	v_cmp_lt_i32_e64 s[50:51], v16, 34                         // 000000005FB8: D0C10032 00014510
	v_cmp_lt_i32_e64 s[52:53], v16, 35                         // 000000005FC0: D0C10034 00014710
	v_cndmask_b32_e64 v66, v66, v31, s[50:51]                  // 000000005FC8: D1000042 00CA3F42
	v_cndmask_b32_e64 v67, v67, v31, s[52:53]                  // 000000005FD0: D1000043 00D23F43
	v_cmp_lt_i32_e64 s[50:51], v16, 40                         // 000000005FD8: D0C10032 00015110
	v_cmp_lt_i32_e64 s[52:53], v16, 41                         // 000000005FE0: D0C10034 00015310
	v_cndmask_b32_e64 v68, v68, v31, s[50:51]                  // 000000005FE8: D1000044 00CA3F44
	v_cndmask_b32_e64 v69, v69, v31, s[52:53]                  // 000000005FF0: D1000045 00D23F45
	v_cmp_lt_i32_e64 s[50:51], v16, 42                         // 000000005FF8: D0C10032 00015510
	v_cmp_lt_i32_e64 s[52:53], v16, 43                         // 000000006000: D0C10034 00015710
	v_cndmask_b32_e64 v70, v70, v31, s[50:51]                  // 000000006008: D1000046 00CA3F46
	v_cndmask_b32_e64 v71, v71, v31, s[52:53]                  // 000000006010: D1000047 00D23F47
	v_cmp_lt_i32_e64 s[50:51], v16, 48                         // 000000006018: D0C10032 00016110
	v_cmp_lt_i32_e64 s[52:53], v16, 49                         // 000000006020: D0C10034 00016310
	v_cndmask_b32_e64 v72, v72, v31, s[50:51]                  // 000000006028: D1000048 00CA3F48
	v_cndmask_b32_e64 v73, v73, v31, s[52:53]                  // 000000006030: D1000049 00D23F49
	v_cmp_lt_i32_e64 s[50:51], v16, 50                         // 000000006038: D0C10032 00016510
	v_cmp_lt_i32_e64 s[52:53], v16, 51                         // 000000006040: D0C10034 00016710
	v_cndmask_b32_e64 v74, v74, v31, s[50:51]                  // 000000006048: D100004A 00CA3F4A
	v_cndmask_b32_e64 v75, v75, v31, s[52:53]                  // 000000006050: D100004B 00D23F4B
	v_cmp_lt_i32_e64 s[50:51], v16, 56                         // 000000006058: D0C10032 00017110
	v_cmp_lt_i32_e64 s[52:53], v16, 57                         // 000000006060: D0C10034 00017310
	v_cndmask_b32_e64 v76, v76, v31, s[50:51]                  // 000000006068: D100004C 00CA3F4C
	v_cndmask_b32_e64 v77, v77, v31, s[52:53]                  // 000000006070: D100004D 00D23F4D
	v_cmp_lt_i32_e64 s[50:51], v16, 58                         // 000000006078: D0C10032 00017510
	v_cmp_lt_i32_e64 s[52:53], v16, 59                         // 000000006080: D0C10034 00017710
	v_cndmask_b32_e64 v78, v78, v31, s[50:51]                  // 000000006088: D100004E 00CA3F4E
	v_cndmask_b32_e64 v79, v79, v31, s[52:53]                  // 000000006090: D100004F 00D23F4F
	s_nop 0                                                    // 000000006098: BF800000
	s_cmp_lt_i32 s72, s76                                      // 00000000609C: BF044C48
	s_cbranch_scc1 label_09EC                                  // 0000000060A0: BF850083
	s_sub_i32 s34, s7, s72                                     // 0000000060A4: 81A24807
	v_sub_i32 v16, s34, v30                                    // 0000000060A8: D29D0010 00023C22
	v_cmp_lt_i32_e64 s[50:51], 0, v16                          // 0000000060B0: D0C10032 00022080
	v_cmp_lt_i32_e64 s[52:53], 1, v16                          // 0000000060B8: D0C10034 00022081
	v_cndmask_b32_e64 v48, v31, v48, s[50:51]                  // 0000000060C0: D1000030 00CA611F
	v_cndmask_b32_e64 v49, v31, v49, s[52:53]                  // 0000000060C8: D1000031 00D2631F
	v_cmp_lt_i32_e64 s[50:51], 2, v16                          // 0000000060D0: D0C10032 00022082
	v_cmp_lt_i32_e64 s[52:53], 3, v16                          // 0000000060D8: D0C10034 00022083
	v_cndmask_b32_e64 v50, v31, v50, s[50:51]                  // 0000000060E0: D1000032 00CA651F
	v_cndmask_b32_e64 v51, v31, v51, s[52:53]                  // 0000000060E8: D1000033 00D2671F
	v_cmp_lt_i32_e64 s[50:51], 8, v16                          // 0000000060F0: D0C10032 00022088
	v_cmp_lt_i32_e64 s[52:53], 9, v16                          // 0000000060F8: D0C10034 00022089
	v_cndmask_b32_e64 v52, v31, v52, s[50:51]                  // 000000006100: D1000034 00CA691F
	v_cndmask_b32_e64 v53, v31, v53, s[52:53]                  // 000000006108: D1000035 00D26B1F
	v_cmp_lt_i32_e64 s[50:51], 10, v16                         // 000000006110: D0C10032 0002208A
	v_cmp_lt_i32_e64 s[52:53], 11, v16                         // 000000006118: D0C10034 0002208B
	v_cndmask_b32_e64 v54, v31, v54, s[50:51]                  // 000000006120: D1000036 00CA6D1F
	v_cndmask_b32_e64 v55, v31, v55, s[52:53]                  // 000000006128: D1000037 00D26F1F
	v_cmp_lt_i32_e64 s[50:51], 16, v16                         // 000000006130: D0C10032 00022090
	v_cmp_lt_i32_e64 s[52:53], 17, v16                         // 000000006138: D0C10034 00022091
	v_cndmask_b32_e64 v56, v31, v56, s[50:51]                  // 000000006140: D1000038 00CA711F
	v_cndmask_b32_e64 v57, v31, v57, s[52:53]                  // 000000006148: D1000039 00D2731F
	v_cmp_lt_i32_e64 s[50:51], 18, v16                         // 000000006150: D0C10032 00022092
	v_cmp_lt_i32_e64 s[52:53], 19, v16                         // 000000006158: D0C10034 00022093
	v_cndmask_b32_e64 v58, v31, v58, s[50:51]                  // 000000006160: D100003A 00CA751F
	v_cndmask_b32_e64 v59, v31, v59, s[52:53]                  // 000000006168: D100003B 00D2771F
	v_cmp_lt_i32_e64 s[50:51], 24, v16                         // 000000006170: D0C10032 00022098
	v_cmp_lt_i32_e64 s[52:53], 25, v16                         // 000000006178: D0C10034 00022099
	v_cndmask_b32_e64 v60, v31, v60, s[50:51]                  // 000000006180: D100003C 00CA791F
	v_cndmask_b32_e64 v61, v31, v61, s[52:53]                  // 000000006188: D100003D 00D27B1F
	v_cmp_lt_i32_e64 s[50:51], 26, v16                         // 000000006190: D0C10032 0002209A
	v_cmp_lt_i32_e64 s[52:53], 27, v16                         // 000000006198: D0C10034 0002209B
	v_cndmask_b32_e64 v62, v31, v62, s[50:51]                  // 0000000061A0: D100003E 00CA7D1F
	v_cndmask_b32_e64 v63, v31, v63, s[52:53]                  // 0000000061A8: D100003F 00D27F1F
	v_cmp_lt_i32_e64 s[50:51], 32, v16                         // 0000000061B0: D0C10032 000220A0
	v_cmp_lt_i32_e64 s[52:53], 33, v16                         // 0000000061B8: D0C10034 000220A1
	v_cndmask_b32_e64 v64, v31, v64, s[50:51]                  // 0000000061C0: D1000040 00CA811F
	v_cndmask_b32_e64 v65, v31, v65, s[52:53]                  // 0000000061C8: D1000041 00D2831F
	v_cmp_lt_i32_e64 s[50:51], 34, v16                         // 0000000061D0: D0C10032 000220A2
	v_cmp_lt_i32_e64 s[52:53], 35, v16                         // 0000000061D8: D0C10034 000220A3
	v_cndmask_b32_e64 v66, v31, v66, s[50:51]                  // 0000000061E0: D1000042 00CA851F
	v_cndmask_b32_e64 v67, v31, v67, s[52:53]                  // 0000000061E8: D1000043 00D2871F
	v_cmp_lt_i32_e64 s[50:51], 40, v16                         // 0000000061F0: D0C10032 000220A8
	v_cmp_lt_i32_e64 s[52:53], 41, v16                         // 0000000061F8: D0C10034 000220A9
	v_cndmask_b32_e64 v68, v31, v68, s[50:51]                  // 000000006200: D1000044 00CA891F
	v_cndmask_b32_e64 v69, v31, v69, s[52:53]                  // 000000006208: D1000045 00D28B1F
	v_cmp_lt_i32_e64 s[50:51], 42, v16                         // 000000006210: D0C10032 000220AA
	v_cmp_lt_i32_e64 s[52:53], 43, v16                         // 000000006218: D0C10034 000220AB
	v_cndmask_b32_e64 v70, v31, v70, s[50:51]                  // 000000006220: D1000046 00CA8D1F
	v_cndmask_b32_e64 v71, v31, v71, s[52:53]                  // 000000006228: D1000047 00D28F1F
	v_cmp_lt_i32_e64 s[50:51], 48, v16                         // 000000006230: D0C10032 000220B0
	v_cmp_lt_i32_e64 s[52:53], 49, v16                         // 000000006238: D0C10034 000220B1
	v_cndmask_b32_e64 v72, v31, v72, s[50:51]                  // 000000006240: D1000048 00CA911F
	v_cndmask_b32_e64 v73, v31, v73, s[52:53]                  // 000000006248: D1000049 00D2931F
	v_cmp_lt_i32_e64 s[50:51], 50, v16                         // 000000006250: D0C10032 000220B2
	v_cmp_lt_i32_e64 s[52:53], 51, v16                         // 000000006258: D0C10034 000220B3
	v_cndmask_b32_e64 v74, v31, v74, s[50:51]                  // 000000006260: D100004A 00CA951F
	v_cndmask_b32_e64 v75, v31, v75, s[52:53]                  // 000000006268: D100004B 00D2971F
	v_cmp_lt_i32_e64 s[50:51], 56, v16                         // 000000006270: D0C10032 000220B8
	v_cmp_lt_i32_e64 s[52:53], 57, v16                         // 000000006278: D0C10034 000220B9
	v_cndmask_b32_e64 v76, v31, v76, s[50:51]                  // 000000006280: D100004C 00CA991F
	v_cndmask_b32_e64 v77, v31, v77, s[52:53]                  // 000000006288: D100004D 00D29B1F
	v_cmp_lt_i32_e64 s[50:51], 58, v16                         // 000000006290: D0C10032 000220BA
	v_cmp_lt_i32_e64 s[52:53], 59, v16                         // 000000006298: D0C10034 000220BB
	v_cndmask_b32_e64 v78, v31, v78, s[50:51]                  // 0000000062A0: D100004E 00CA9D1F
	v_cndmask_b32_e64 v79, v31, v79, s[52:53]                  // 0000000062A8: D100004F 00D29F1F

00000000000062b0 <label_09EC>:
	s_waitcnt lgkmcnt(0)                                       // 0000000062B0: BF8CC07F
	s_barrier                                                  // 0000000062B4: BF8A0000
	v_mfma_f32_32x32x16_fp8_fp8 v[112:127], v[192:193], v[80:81], v[112:127]// 0000000062B8: D3F70070 05C2A1C0
	v_max3_f32 v25, v48, v49, v28                              // 0000000062C0: D1D30019 04726330
	v_max3_f32 v25, v50, v51, v25                              // 0000000062C8: D1D30019 04666732
	v_max3_f32 v25, v52, v53, v25                              // 0000000062D0: D1D30019 04666B34
	v_max3_f32 v25, v54, v55, v25                              // 0000000062D8: D1D30019 04666F36
	v_max3_f32 v25, v56, v57, v25                              // 0000000062E0: D1D30019 04667338
	v_max3_f32 v25, v58, v59, v25                              // 0000000062E8: D1D30019 0466773A
	v_max3_f32 v25, v60, v61, v25                              // 0000000062F0: D1D30019 04667B3C
	v_mfma_f32_32x32x16_fp8_fp8 v[112:127], v[194:195], v[82:83], v[112:127]// 0000000062F8: D3F70070 05C2A5C2
	v_max3_f32 v25, v62, v63, v25                              // 000000006300: D1D30019 04667F3E
	v_max3_f32 v25, v64, v65, v25                              // 000000006308: D1D30019 04668340
	v_max3_f32 v25, v66, v67, v25                              // 000000006310: D1D30019 04668742
	v_max3_f32 v25, v68, v69, v25                              // 000000006318: D1D30019 04668B44
	v_max3_f32 v25, v70, v71, v25                              // 000000006320: D1D30019 04668F46
	v_max3_f32 v25, v72, v73, v25                              // 000000006328: D1D30019 04669348
	v_max3_f32 v25, v74, v75, v25                              // 000000006330: D1D30019 0466974A
	v_mfma_f32_32x32x16_fp8_fp8 v[112:127], v[196:197], v[84:85], v[112:127]// 000000006338: D3F70070 05C2A9C4
	v_max3_f32 v25, v76, v77, v25                              // 000000006340: D1D30019 04669B4C
	v_max3_f32 v25, v78, v79, v25                              // 000000006348: D1D30019 04669F4E
	ds_permute_b32 v24, v32, v25                               // 000000006350: D87C0000 18001920
	v_mfma_f32_32x32x16_fp8_fp8 v[112:127], v[198:199], v[86:87], v[112:127]// 000000006358: D3F70070 05C2ADC6
	v_nop                                                      // 000000006360: 7E000000
	s_nop 0                                                    // 000000006364: BF800000
	v_mfma_f32_32x32x16_fp8_fp8 v[128:143], v[200:201], v[80:81], v[128:143]// 000000006368: D3F70080 0602A1C8
	v_nop                                                      // 000000006370: 7E000000
	v_mfma_f32_32x32x16_fp8_fp8 v[128:143], v[202:203], v[82:83], v[128:143]// 000000006374: D3F70080 0602A5CA
	s_waitcnt lgkmcnt(0)                                       // 00000000637C: BF8CC07F
	v_max_f32_e32 v25, v24, v25                                // 000000006380: 16323318
	v_sub_f32_e32 v20, v28, v25                                // 000000006384: 0428331C
	v_mov_b32_e32 v28, v25                                     // 000000006388: 7E380319
	v_mul_f32_e32 v27, s74, v25                                // 00000000638C: 0A36324A
	v_mul_f32_e32 v20, s74, v20                                // 000000006390: 0A28284A
	v_mfma_f32_32x32x16_fp8_fp8 v[128:143], v[204:205], v[84:85], v[128:143]// 000000006394: D3F70080 0602A9CC
	v_exp_f32_e32 v20, v20                                     // 00000000639C: 7E284114
	v_fma_f32 v48, v48, s74, -v27                              // 0000000063A0: D1CB0030 846C9530
	v_fma_f32 v49, v49, s74, -v27                              // 0000000063A8: D1CB0031 846C9531
	v_fma_f32 v50, v50, s74, -v27                              // 0000000063B0: D1CB0032 846C9532
	v_mfma_f32_32x32x16_fp8_fp8 v[128:143], v[206:207], v[86:87], v[128:143]// 0000000063B8: D3F70080 0602ADCE
	v_fma_f32 v51, v51, s74, -v27                              // 0000000063C0: D1CB0033 846C9533
	v_fma_f32 v52, v52, s74, -v27                              // 0000000063C8: D1CB0034 846C9534
	v_fma_f32 v53, v53, s74, -v27                              // 0000000063D0: D1CB0035 846C9535
	v_fma_f32 v54, v54, s74, -v27                              // 0000000063D8: D1CB0036 846C9536
	v_fma_f32 v55, v55, s74, -v27                              // 0000000063E0: D1CB0037 846C9537
	v_fma_f32 v56, v56, s74, -v27                              // 0000000063E8: D1CB0038 846C9538
	v_fma_f32 v57, v57, s74, -v27                              // 0000000063F0: D1CB0039 846C9539
	v_mfma_f32_32x32x16_fp8_fp8 v[144:159], v[208:209], v[80:81], v[144:159]// 0000000063F8: D3F70090 0642A1D0
	v_fma_f32 v58, v58, s74, -v27                              // 000000006400: D1CB003A 846C953A
	v_fma_f32 v59, v59, s74, -v27                              // 000000006408: D1CB003B 846C953B
	v_fma_f32 v60, v60, s74, -v27                              // 000000006410: D1CB003C 846C953C
	v_fma_f32 v61, v61, s74, -v27                              // 000000006418: D1CB003D 846C953D
	v_fma_f32 v62, v62, s74, -v27                              // 000000006420: D1CB003E 846C953E
	v_fma_f32 v63, v63, s74, -v27                              // 000000006428: D1CB003F 846C953F
	v_fma_f32 v64, v64, s74, -v27                              // 000000006430: D1CB0040 846C9540
	v_mfma_f32_32x32x16_fp8_fp8 v[144:159], v[210:211], v[82:83], v[144:159]// 000000006438: D3F70090 0642A5D2
	v_fma_f32 v65, v65, s74, -v27                              // 000000006440: D1CB0041 846C9541
	v_fma_f32 v66, v66, s74, -v27                              // 000000006448: D1CB0042 846C9542
	v_fma_f32 v67, v67, s74, -v27                              // 000000006450: D1CB0043 846C9543
	v_fma_f32 v68, v68, s74, -v27                              // 000000006458: D1CB0044 846C9544
	v_fma_f32 v69, v69, s74, -v27                              // 000000006460: D1CB0045 846C9545
	v_fma_f32 v70, v70, s74, -v27                              // 000000006468: D1CB0046 846C9546
	v_fma_f32 v71, v71, s74, -v27                              // 000000006470: D1CB0047 846C9547
	v_mfma_f32_32x32x16_fp8_fp8 v[144:159], v[212:213], v[84:85], v[144:159]// 000000006478: D3F70090 0642A9D4
	v_fma_f32 v72, v72, s74, -v27                              // 000000006480: D1CB0048 846C9548
	v_fma_f32 v73, v73, s74, -v27                              // 000000006488: D1CB0049 846C9549
	v_fma_f32 v74, v74, s74, -v27                              // 000000006490: D1CB004A 846C954A
	v_fma_f32 v75, v75, s74, -v27                              // 000000006498: D1CB004B 846C954B
	v_fma_f32 v76, v76, s74, -v27                              // 0000000064A0: D1CB004C 846C954C
	v_fma_f32 v77, v77, s74, -v27                              // 0000000064A8: D1CB004D 846C954D
	v_fma_f32 v78, v78, s74, -v27                              // 0000000064B0: D1CB004E 846C954E
	v_mfma_f32_32x32x16_fp8_fp8 v[144:159], v[214:215], v[86:87], v[144:159]// 0000000064B8: D3F70090 0642ADD6
	v_fma_f32 v79, v79, s74, -v27                              // 0000000064C0: D1CB004F 846C954F
	v_exp_f32_e32 v48, v48                                     // 0000000064C8: 7E604130
	v_exp_f32_e32 v49, v49                                     // 0000000064CC: 7E624131
	v_mfma_f32_32x32x16_fp8_fp8 v[160:175], v[216:217], v[80:81], v[160:175]// 0000000064D0: D3F700A0 0682A1D8
	v_exp_f32_e32 v50, v50                                     // 0000000064D8: 7E644132
	v_exp_f32_e32 v51, v51                                     // 0000000064DC: 7E664133
	v_mfma_f32_32x32x16_fp8_fp8 v[160:175], v[218:219], v[82:83], v[160:175]// 0000000064E0: D3F700A0 0682A5DA
	v_exp_f32_e32 v52, v52                                     // 0000000064E8: 7E684134
	v_exp_f32_e32 v53, v53                                     // 0000000064EC: 7E6A4135
	v_mfma_f32_32x32x16_fp8_fp8 v[160:175], v[220:221], v[84:85], v[160:175]// 0000000064F0: D3F700A0 0682A9DC
	v_exp_f32_e32 v54, v54                                     // 0000000064F8: 7E6C4136
	v_exp_f32_e32 v55, v55                                     // 0000000064FC: 7E6E4137
	v_mfma_f32_32x32x16_fp8_fp8 v[160:175], v[222:223], v[86:87], v[160:175]// 000000006500: D3F700A0 0682ADDE
	s_waitcnt vmcnt(8)                                         // 000000006508: BF8C0F78
	s_barrier                                                  // 00000000650C: BF8A0000
	ds_read_b128 v[192:195], v12 offset:8704                   // 000000006510: D9FE2200 C000000C
	ds_read_b128 v[196:199], v12 offset:8736                   // 000000006518: D9FE2220 C400000C
	ds_read_b128 v[200:203], v12 offset:8768                   // 000000006520: D9FE2240 C800000C
	ds_read_b128 v[204:207], v12 offset:8800                   // 000000006528: D9FE2260 CC00000C
	s_nop 15                                                   // 000000006530: BF80000F
	s_nop 15                                                   // 000000006534: BF80000F
	s_nop 10                                                   // 000000006538: BF80000A
	buffer_load_dword v228, v8, s[16:19], s32 offen            // 00000000653C: E0501000 2004E408
	ds_read_b128 v[208:211], v12 offset:13056                  // 000000006544: D9FE3300 D000000C
	ds_read_b128 v[212:215], v12 offset:13088                  // 00000000654C: D9FE3320 D400000C
	buffer_load_dword v229, v9, s[16:19], s32 offen            // 000000006554: E0501000 2004E509
	ds_read_b128 v[216:219], v12 offset:13120                  // 00000000655C: D9FE3340 D800000C
	ds_read_b128 v[220:223], v12 offset:13152                  // 000000006564: D9FE3360 DC00000C
	buffer_load_dword v230, v10, s[16:19], s32 offen           // 00000000656C: E0501000 2004E60A
	buffer_load_dword v231, v11, s[16:19], s32 offen           // 000000006574: E0501000 2004E70B
	s_add_i32 s32, s65, s32                                    // 00000000657C: 81202041
	s_add_u32 s34, 0xc0, s63                                   // 000000006580: 80223FFF 000000C0
	s_nop 0                                                    // 000000006588: BF800000
	s_cmp_lt_u32 s34, s62                                      // 00000000658C: BF0A3E22
	s_cselect_b32 s65, s65, 0                                  // 000000006590: 85418041
	s_add_i32 s72, s72, s73                                    // 000000006594: 81484948
	s_addk_i32 s63, 0x40                                       // 000000006598: B73F0040
	s_cmp_lt_i32 s63, s62                                      // 00000000659C: BF043E3F
	s_cbranch_scc0 label_10A2                                  // 0000000065A0: BF8405F9
	s_branch label_04B1                                        // 0000000065A4: BF82FA07

00000000000065a8 <label_0AAA>:
	s_nop 0                                                    // 0000000065A8: BF800000
	s_setprio 1                                                // 0000000065AC: BF8F0001
	s_barrier                                                  // 0000000065B0: BF8A0000

00000000000065b4 <label_0AAD>:
	s_barrier                                                  // 0000000065B4: BF8A0000
	buffer_load_dword v228, v8, s[16:19], s32 offen            // 0000000065B8: E0501000 2004E408
	ds_read_b128 v[192:195], v12 offset:8704                   // 0000000065C0: D9FE2200 C000000C
	ds_read_b128 v[196:199], v12 offset:8736                   // 0000000065C8: D9FE2220 C400000C
	buffer_load_dword v229, v9, s[16:19], s32 offen            // 0000000065D0: E0501000 2004E509
	ds_read_b128 v[200:203], v12 offset:8768                   // 0000000065D8: D9FE2240 C800000C
	ds_read_b128 v[204:207], v12 offset:8800                   // 0000000065E0: D9FE2260 CC00000C
	buffer_load_dword v230, v10, s[16:19], s32 offen           // 0000000065E8: E0501000 2004E60A
	ds_read_b128 v[208:211], v12 offset:13056                  // 0000000065F0: D9FE3300 D000000C
	ds_read_b128 v[212:215], v12 offset:13088                  // 0000000065F8: D9FE3320 D400000C
	buffer_load_dword v231, v11, s[16:19], s32 offen           // 000000006600: E0501000 2004E70B
	ds_read_b128 v[216:219], v12 offset:13120                  // 000000006608: D9FE3340 D800000C
	ds_read_b128 v[220:223], v12 offset:13152                  // 000000006610: D9FE3360 DC00000C
	s_add_i32 s32, s65, s32                                    // 000000006618: 81202041
	s_add_u32 s34, 0x80, s63                                   // 00000000661C: 80223FFF 00000080
	s_nop 0                                                    // 000000006624: BF800000
	s_cmp_lt_u32 s34, s62                                      // 000000006628: BF0A3E22
	s_cselect_b32 s65, s65, 0                                  // 00000000662C: 85418041
	s_waitcnt vmcnt(8) lgkmcnt(0)                              // 000000006630: BF8C0078
	s_barrier                                                  // 000000006634: BF8A0000
	v_perm_b32 v16, v225, v224, s69                            // 000000006638: D1ED0010 0117C1E1
	v_perm_b32 v17, v225, v224, s70                            // 000000006640: D1ED0011 011BC1E1
	v_perm_b32 v18, v227, v226, s69                            // 000000006648: D1ED0012 0117C5E3
	v_perm_b32 v19, v227, v226, s70                            // 000000006650: D1ED0013 011BC5E3
	v_perm_b32 v232, v18, v16, s68                             // 000000006658: D1ED00E8 01122112
	v_perm_b32 v233, v18, v16, s67                             // 000000006660: D1ED00E9 010E2112
	v_perm_b32 v234, v19, v17, s68                             // 000000006668: D1ED00EA 01122313
	v_perm_b32 v235, v19, v17, s67                             // 000000006670: D1ED00EB 010E2313
	ds_write_b32 v14, v232 offset:17408                        // 000000006678: D81A4400 0000E80E
	ds_write_b32 v14, v233 offset:19488                        // 000000006680: D81A4C20 0000E90E
	ds_write_b32 v14, v234 offset:21568                        // 000000006688: D81A5440 0000EA0E
	ds_write_b32 v14, v235 offset:23648                        // 000000006690: D81A5C60 0000EB0E
	s_barrier                                                  // 000000006698: BF8A0000
	v_mfma_f32_32x32x16_fp8_fp8 v[80:95], v[192:193], v[176:177], 0// 00000000669C: D3F70050 020361C0
	v_exp_f32_e32 v56, v56                                     // 0000000066A4: 7E704138
	v_exp_f32_e32 v57, v57                                     // 0000000066A8: 7E724139
	v_mfma_f32_32x32x16_fp8_fp8 v[80:95], v[194:195], v[178:179], v[80:95]// 0000000066AC: D3F70050 054365C2
	v_exp_f32_e32 v58, v58                                     // 0000000066B4: 7E74413A
	v_exp_f32_e32 v59, v59                                     // 0000000066B8: 7E76413B
	v_mfma_f32_32x32x16_fp8_fp8 v[80:95], v[196:197], v[180:181], v[80:95]// 0000000066BC: D3F70050 054369C4
	v_exp_f32_e32 v60, v60                                     // 0000000066C4: 7E78413C
	v_exp_f32_e32 v61, v61                                     // 0000000066C8: 7E7A413D
	v_mfma_f32_32x32x16_fp8_fp8 v[80:95], v[198:199], v[182:183], v[80:95]// 0000000066CC: D3F70050 05436DC6
	s_waitcnt lgkmcnt(0)                                       // 0000000066D4: BF8CC07F
	s_barrier                                                  // 0000000066D8: BF8A0000
	v_mfma_f32_32x32x16_fp8_fp8 v[80:95], v[200:201], v[184:185], v[80:95]// 0000000066DC: D3F70050 054371C8
	v_exp_f32_e32 v62, v62                                     // 0000000066E4: 7E7C413E
	v_exp_f32_e32 v63, v63                                     // 0000000066E8: 7E7E413F
	v_mfma_f32_32x32x16_fp8_fp8 v[80:95], v[202:203], v[186:187], v[80:95]// 0000000066EC: D3F70050 054375CA
	v_exp_f32_e32 v64, v64                                     // 0000000066F4: 7E804140
	v_exp_f32_e32 v65, v65                                     // 0000000066F8: 7E824141
	v_mfma_f32_32x32x16_fp8_fp8 v[80:95], v[204:205], v[188:189], v[80:95]// 0000000066FC: D3F70050 054379CC
	v_exp_f32_e32 v66, v66                                     // 000000006704: 7E844142
	v_exp_f32_e32 v67, v67                                     // 000000006708: 7E864143
	v_mfma_f32_32x32x16_fp8_fp8 v[80:95], v[206:207], v[190:191], v[80:95]// 00000000670C: D3F70050 05437DCE
	v_exp_f32_e32 v68, v68                                     // 000000006714: 7E884144
	v_exp_f32_e32 v69, v69                                     // 000000006718: 7E8A4145
	v_mfma_f32_32x32x16_fp8_fp8 v[96:111], v[208:209], v[176:177], 0// 00000000671C: D3F70060 020361D0
	v_exp_f32_e32 v70, v70                                     // 000000006724: 7E8C4146
	v_exp_f32_e32 v71, v71                                     // 000000006728: 7E8E4147
	v_mfma_f32_32x32x16_fp8_fp8 v[96:111], v[210:211], v[178:179], v[96:111]// 00000000672C: D3F70060 058365D2
	v_exp_f32_e32 v72, v72                                     // 000000006734: 7E904148
	v_exp_f32_e32 v73, v73                                     // 000000006738: 7E924149
	v_mfma_f32_32x32x16_fp8_fp8 v[96:111], v[212:213], v[180:181], v[96:111]// 00000000673C: D3F70060 058369D4
	v_exp_f32_e32 v74, v74                                     // 000000006744: 7E94414A
	v_exp_f32_e32 v75, v75                                     // 000000006748: 7E96414B
	v_mfma_f32_32x32x16_fp8_fp8 v[96:111], v[214:215], v[182:183], v[96:111]// 00000000674C: D3F70060 05836DD6
	v_exp_f32_e32 v76, v76                                     // 000000006754: 7E98414C
	v_exp_f32_e32 v77, v77                                     // 000000006758: 7E9A414D
	v_mfma_f32_32x32x16_fp8_fp8 v[96:111], v[216:217], v[184:185], v[96:111]// 00000000675C: D3F70060 058371D8
	v_exp_f32_e32 v78, v78                                     // 000000006764: 7E9C414E
	v_exp_f32_e32 v79, v79                                     // 000000006768: 7E9E414F
	v_mfma_f32_32x32x16_fp8_fp8 v[96:111], v[218:219], v[186:187], v[96:111]// 00000000676C: D3F70060 058375DA
	v_mul_f32_e32 v22, v20, v22                                // 000000006774: 0A2C2D14
	v_add_f32_e32 v38, v49, v48                                // 000000006778: 024C6131
	v_add_f32_e32 v38, v50, v38                                // 00000000677C: 024C4D32
	v_add_f32_e32 v38, v51, v38                                // 000000006780: 024C4D33
	v_add_f32_e32 v38, v52, v38                                // 000000006784: 024C4D34
	v_add_f32_e32 v38, v53, v38                                // 000000006788: 024C4D35
	v_add_f32_e32 v38, v54, v38                                // 00000000678C: 024C4D36
	v_mfma_f32_32x32x16_fp8_fp8 v[96:111], v[220:221], v[188:189], v[96:111]// 000000006790: D3F70060 058379DC
	v_add_f32_e32 v38, v55, v38                                // 000000006798: 024C4D37
	v_add_f32_e32 v38, v56, v38                                // 00000000679C: 024C4D38
	v_add_f32_e32 v38, v57, v38                                // 0000000067A0: 024C4D39
	v_add_f32_e32 v38, v58, v38                                // 0000000067A4: 024C4D3A
	v_add_f32_e32 v38, v59, v38                                // 0000000067A8: 024C4D3B
	v_add_f32_e32 v38, v60, v38                                // 0000000067AC: 024C4D3C
	v_add_f32_e32 v38, v61, v38                                // 0000000067B0: 024C4D3D
	v_mfma_f32_32x32x16_fp8_fp8 v[96:111], v[222:223], v[190:191], v[96:111]// 0000000067B4: D3F70060 05837DDE
	v_add_f32_e32 v38, v62, v38                                // 0000000067BC: 024C4D3E
	v_add_f32_e32 v38, v63, v38                                // 0000000067C0: 024C4D3F
	v_add_f32_e32 v38, v64, v38                                // 0000000067C4: 024C4D40
	v_add_f32_e32 v38, v65, v38                                // 0000000067C8: 024C4D41
	v_add_f32_e32 v38, v66, v38                                // 0000000067CC: 024C4D42
	v_add_f32_e32 v38, v67, v38                                // 0000000067D0: 024C4D43
	v_add_f32_e32 v38, v68, v38                                // 0000000067D4: 024C4D44
	v_add_f32_e32 v38, v69, v38                                // 0000000067D8: 024C4D45
	v_add_f32_e32 v38, v70, v38                                // 0000000067DC: 024C4D46
	v_add_f32_e32 v38, v71, v38                                // 0000000067E0: 024C4D47
	v_add_f32_e32 v38, v72, v38                                // 0000000067E4: 024C4D48
	v_add_f32_e32 v38, v73, v38                                // 0000000067E8: 024C4D49
	v_add_f32_e32 v38, v74, v38                                // 0000000067EC: 024C4D4A
	v_add_f32_e32 v38, v75, v38                                // 0000000067F0: 024C4D4B
	v_add_f32_e32 v38, v76, v38                                // 0000000067F4: 024C4D4C
	v_add_f32_e32 v38, v77, v38                                // 0000000067F8: 024C4D4D
	v_add_f32_e32 v38, v78, v38                                // 0000000067FC: 024C4D4E
	v_add_f32_e32 v38, v79, v38                                // 000000006800: 024C4D4F
	v_add_f32_e32 v22, v38, v22                                // 000000006804: 022C2D26
	v_cvt_pk_fp8_f32 v48, v48, v49                             // 000000006808: D2A20030 00026330
	v_cvt_pk_fp8_f32 v48, v50, v51 op_sel:[0,0,1]              // 000000006810: D2A24030 00026732
	v_cvt_pk_fp8_f32 v49, v52, v53                             // 000000006818: D2A20031 00026B34
	v_cvt_pk_fp8_f32 v49, v54, v55 op_sel:[0,0,1]              // 000000006820: D2A24031 00026F36
	v_cvt_pk_fp8_f32 v50, v56, v57                             // 000000006828: D2A20032 00027338
	v_cvt_pk_fp8_f32 v50, v58, v59 op_sel:[0,0,1]              // 000000006830: D2A24032 0002773A
	v_cvt_pk_fp8_f32 v51, v60, v61                             // 000000006838: D2A20033 00027B3C
	v_cvt_pk_fp8_f32 v51, v62, v63 op_sel:[0,0,1]              // 000000006840: D2A24033 00027F3E
	v_cvt_pk_fp8_f32 v52, v64, v65                             // 000000006848: D2A20034 00028340
	v_cvt_pk_fp8_f32 v52, v66, v67 op_sel:[0,0,1]              // 000000006850: D2A24034 00028742
	v_cvt_pk_fp8_f32 v53, v68, v69                             // 000000006858: D2A20035 00028B44
	v_cvt_pk_fp8_f32 v53, v70, v71 op_sel:[0,0,1]              // 000000006860: D2A24035 00028F46
	v_cvt_pk_fp8_f32 v54, v72, v73                             // 000000006868: D2A20036 00029348
	v_cvt_pk_fp8_f32 v54, v74, v75 op_sel:[0,0,1]              // 000000006870: D2A24036 0002974A
	v_cvt_pk_fp8_f32 v55, v76, v77                             // 000000006878: D2A20037 00029B4C
	v_cvt_pk_fp8_f32 v55, v78, v79 op_sel:[0,0,1]              // 000000006880: D2A24037 00029F4E
	s_nop 0                                                    // 000000006888: BF800000
	v_mov_b32_e32 v21, v20                                     // 00000000688C: 7E2A0314
	v_mul_f32_e32 v112, v20, v112                              // 000000006890: 0AE0E114
	v_mul_f32_e32 v113, v20, v113                              // 000000006894: 0AE2E314
	v_pk_mul_f32 v[114:115], v[20:21], v[114:115]              // 000000006898: D3B14072 1802E514
	v_pk_mul_f32 v[116:117], v[20:21], v[116:117]              // 0000000068A0: D3B14074 1802E914
	v_pk_mul_f32 v[118:119], v[20:21], v[118:119]              // 0000000068A8: D3B14076 1802ED14
	v_pk_mul_f32 v[120:121], v[20:21], v[120:121]              // 0000000068B0: D3B14078 1802F114
	v_pk_mul_f32 v[122:123], v[20:21], v[122:123]              // 0000000068B8: D3B1407A 1802F514
	v_pk_mul_f32 v[124:125], v[20:21], v[124:125]              // 0000000068C0: D3B1407C 1802F914
	v_pk_mul_f32 v[126:127], v[20:21], v[126:127]              // 0000000068C8: D3B1407E 1802FD14
	v_pk_mul_f32 v[128:129], v[20:21], v[128:129]              // 0000000068D0: D3B14080 18030114
	v_pk_mul_f32 v[130:131], v[20:21], v[130:131]              // 0000000068D8: D3B14082 18030514
	v_pk_mul_f32 v[132:133], v[20:21], v[132:133]              // 0000000068E0: D3B14084 18030914
	v_pk_mul_f32 v[134:135], v[20:21], v[134:135]              // 0000000068E8: D3B14086 18030D14
	v_pk_mul_f32 v[136:137], v[20:21], v[136:137]              // 0000000068F0: D3B14088 18031114
	v_pk_mul_f32 v[138:139], v[20:21], v[138:139]              // 0000000068F8: D3B1408A 18031514
	v_pk_mul_f32 v[140:141], v[20:21], v[140:141]              // 000000006900: D3B1408C 18031914
	v_pk_mul_f32 v[142:143], v[20:21], v[142:143]              // 000000006908: D3B1408E 18031D14
	v_pk_mul_f32 v[144:145], v[20:21], v[144:145]              // 000000006910: D3B14090 18032114
	v_pk_mul_f32 v[146:147], v[20:21], v[146:147]              // 000000006918: D3B14092 18032514
	v_pk_mul_f32 v[148:149], v[20:21], v[148:149]              // 000000006920: D3B14094 18032914
	v_pk_mul_f32 v[150:151], v[20:21], v[150:151]              // 000000006928: D3B14096 18032D14
	v_pk_mul_f32 v[152:153], v[20:21], v[152:153]              // 000000006930: D3B14098 18033114
	v_pk_mul_f32 v[154:155], v[20:21], v[154:155]              // 000000006938: D3B1409A 18033514
	v_pk_mul_f32 v[156:157], v[20:21], v[156:157]              // 000000006940: D3B1409C 18033914
	v_pk_mul_f32 v[158:159], v[20:21], v[158:159]              // 000000006948: D3B1409E 18033D14
	v_pk_mul_f32 v[160:161], v[20:21], v[160:161]              // 000000006950: D3B140A0 18034114
	v_pk_mul_f32 v[162:163], v[20:21], v[162:163]              // 000000006958: D3B140A2 18034514
	v_pk_mul_f32 v[164:165], v[20:21], v[164:165]              // 000000006960: D3B140A4 18034914
	v_pk_mul_f32 v[166:167], v[20:21], v[166:167]              // 000000006968: D3B140A6 18034D14
	v_pk_mul_f32 v[168:169], v[20:21], v[168:169]              // 000000006970: D3B140A8 18035114
	v_pk_mul_f32 v[170:171], v[20:21], v[170:171]              // 000000006978: D3B140AA 18035514
	v_pk_mul_f32 v[172:173], v[20:21], v[172:173]              // 000000006980: D3B140AC 18035914
	v_pk_mul_f32 v[174:175], v[20:21], v[174:175]              // 000000006988: D3B140AE 18035D14
	s_barrier                                                  // 000000006990: BF8A0000
	s_nop 0                                                    // 000000006994: BF800000
	s_cmp_lt_i32 s72, s71                                      // 000000006998: BF044748
	s_cbranch_scc1 label_0CB4                                  // 00000000699C: BF85010C
	s_sub_i32 s34, s71, s72                                    // 0000000069A0: 81A24847
	s_sub_i32 s35, s7, s29                                     // 0000000069A4: 81A31D07
	s_and_b32 s35, s35, 63                                     // 0000000069A8: 8623BF23
	s_add_i32 s34, s34, s35                                    // 0000000069AC: 81222322
	v_add_i32 v16, v29, s34                                    // 0000000069B0: D29C0010 0000451D
	v_cmp_lt_i32_e64 s[50:51], v16, 0                          // 0000000069B8: D0C10032 00010110
	v_cmp_lt_i32_e64 s[52:53], v16, 1                          // 0000000069C0: D0C10034 00010310
	v_cndmask_b32_e64 v80, v80, v31, s[50:51]                  // 0000000069C8: D1000050 00CA3F50
	v_cndmask_b32_e64 v81, v81, v31, s[52:53]                  // 0000000069D0: D1000051 00D23F51
	v_cmp_lt_i32_e64 s[50:51], v16, 2                          // 0000000069D8: D0C10032 00010510
	v_cmp_lt_i32_e64 s[52:53], v16, 3                          // 0000000069E0: D0C10034 00010710
	v_cndmask_b32_e64 v82, v82, v31, s[50:51]                  // 0000000069E8: D1000052 00CA3F52
	v_cndmask_b32_e64 v83, v83, v31, s[52:53]                  // 0000000069F0: D1000053 00D23F53
	v_cmp_lt_i32_e64 s[50:51], v16, 8                          // 0000000069F8: D0C10032 00011110
	v_cmp_lt_i32_e64 s[52:53], v16, 9                          // 000000006A00: D0C10034 00011310
	v_cndmask_b32_e64 v84, v84, v31, s[50:51]                  // 000000006A08: D1000054 00CA3F54
	v_cndmask_b32_e64 v85, v85, v31, s[52:53]                  // 000000006A10: D1000055 00D23F55
	v_cmp_lt_i32_e64 s[50:51], v16, 10                         // 000000006A18: D0C10032 00011510
	v_cmp_lt_i32_e64 s[52:53], v16, 11                         // 000000006A20: D0C10034 00011710
	v_cndmask_b32_e64 v86, v86, v31, s[50:51]                  // 000000006A28: D1000056 00CA3F56
	v_cndmask_b32_e64 v87, v87, v31, s[52:53]                  // 000000006A30: D1000057 00D23F57
	v_cmp_lt_i32_e64 s[50:51], v16, 16                         // 000000006A38: D0C10032 00012110
	v_cmp_lt_i32_e64 s[52:53], v16, 17                         // 000000006A40: D0C10034 00012310
	v_cndmask_b32_e64 v88, v88, v31, s[50:51]                  // 000000006A48: D1000058 00CA3F58
	v_cndmask_b32_e64 v89, v89, v31, s[52:53]                  // 000000006A50: D1000059 00D23F59
	v_cmp_lt_i32_e64 s[50:51], v16, 18                         // 000000006A58: D0C10032 00012510
	v_cmp_lt_i32_e64 s[52:53], v16, 19                         // 000000006A60: D0C10034 00012710
	v_cndmask_b32_e64 v90, v90, v31, s[50:51]                  // 000000006A68: D100005A 00CA3F5A
	v_cndmask_b32_e64 v91, v91, v31, s[52:53]                  // 000000006A70: D100005B 00D23F5B
	v_cmp_lt_i32_e64 s[50:51], v16, 24                         // 000000006A78: D0C10032 00013110
	v_cmp_lt_i32_e64 s[52:53], v16, 25                         // 000000006A80: D0C10034 00013310
	v_cndmask_b32_e64 v92, v92, v31, s[50:51]                  // 000000006A88: D100005C 00CA3F5C
	v_cndmask_b32_e64 v93, v93, v31, s[52:53]                  // 000000006A90: D100005D 00D23F5D
	v_cmp_lt_i32_e64 s[50:51], v16, 26                         // 000000006A98: D0C10032 00013510
	v_cmp_lt_i32_e64 s[52:53], v16, 27                         // 000000006AA0: D0C10034 00013710
	v_cndmask_b32_e64 v94, v94, v31, s[50:51]                  // 000000006AA8: D100005E 00CA3F5E
	v_cndmask_b32_e64 v95, v95, v31, s[52:53]                  // 000000006AB0: D100005F 00D23F5F
	v_cmp_lt_i32_e64 s[50:51], v16, 32                         // 000000006AB8: D0C10032 00014110
	v_cmp_lt_i32_e64 s[52:53], v16, 33                         // 000000006AC0: D0C10034 00014310
	v_cndmask_b32_e64 v96, v96, v31, s[50:51]                  // 000000006AC8: D1000060 00CA3F60
	v_cndmask_b32_e64 v97, v97, v31, s[52:53]                  // 000000006AD0: D1000061 00D23F61
	v_cmp_lt_i32_e64 s[50:51], v16, 34                         // 000000006AD8: D0C10032 00014510
	v_cmp_lt_i32_e64 s[52:53], v16, 35                         // 000000006AE0: D0C10034 00014710
	v_cndmask_b32_e64 v98, v98, v31, s[50:51]                  // 000000006AE8: D1000062 00CA3F62
	v_cndmask_b32_e64 v99, v99, v31, s[52:53]                  // 000000006AF0: D1000063 00D23F63
	v_cmp_lt_i32_e64 s[50:51], v16, 40                         // 000000006AF8: D0C10032 00015110
	v_cmp_lt_i32_e64 s[52:53], v16, 41                         // 000000006B00: D0C10034 00015310
	v_cndmask_b32_e64 v100, v100, v31, s[50:51]                // 000000006B08: D1000064 00CA3F64
	v_cndmask_b32_e64 v101, v101, v31, s[52:53]                // 000000006B10: D1000065 00D23F65
	v_cmp_lt_i32_e64 s[50:51], v16, 42                         // 000000006B18: D0C10032 00015510
	v_cmp_lt_i32_e64 s[52:53], v16, 43                         // 000000006B20: D0C10034 00015710
	v_cndmask_b32_e64 v102, v102, v31, s[50:51]                // 000000006B28: D1000066 00CA3F66
	v_cndmask_b32_e64 v103, v103, v31, s[52:53]                // 000000006B30: D1000067 00D23F67
	v_cmp_lt_i32_e64 s[50:51], v16, 48                         // 000000006B38: D0C10032 00016110
	v_cmp_lt_i32_e64 s[52:53], v16, 49                         // 000000006B40: D0C10034 00016310
	v_cndmask_b32_e64 v104, v104, v31, s[50:51]                // 000000006B48: D1000068 00CA3F68
	v_cndmask_b32_e64 v105, v105, v31, s[52:53]                // 000000006B50: D1000069 00D23F69
	v_cmp_lt_i32_e64 s[50:51], v16, 50                         // 000000006B58: D0C10032 00016510
	v_cmp_lt_i32_e64 s[52:53], v16, 51                         // 000000006B60: D0C10034 00016710
	v_cndmask_b32_e64 v106, v106, v31, s[50:51]                // 000000006B68: D100006A 00CA3F6A
	v_cndmask_b32_e64 v107, v107, v31, s[52:53]                // 000000006B70: D100006B 00D23F6B
	v_cmp_lt_i32_e64 s[50:51], v16, 56                         // 000000006B78: D0C10032 00017110
	v_cmp_lt_i32_e64 s[52:53], v16, 57                         // 000000006B80: D0C10034 00017310
	v_cndmask_b32_e64 v108, v108, v31, s[50:51]                // 000000006B88: D100006C 00CA3F6C
	v_cndmask_b32_e64 v109, v109, v31, s[52:53]                // 000000006B90: D100006D 00D23F6D
	v_cmp_lt_i32_e64 s[50:51], v16, 58                         // 000000006B98: D0C10032 00017510
	v_cmp_lt_i32_e64 s[52:53], v16, 59                         // 000000006BA0: D0C10034 00017710
	v_cndmask_b32_e64 v110, v110, v31, s[50:51]                // 000000006BA8: D100006E 00CA3F6E
	v_cndmask_b32_e64 v111, v111, v31, s[52:53]                // 000000006BB0: D100006F 00D23F6F
	s_nop 0                                                    // 000000006BB8: BF800000
	s_cmp_lt_i32 s72, s76                                      // 000000006BBC: BF044C48
	s_cbranch_scc1 label_0CB4                                  // 000000006BC0: BF850083
	s_sub_i32 s34, s7, s72                                     // 000000006BC4: 81A24807
	v_sub_i32 v16, s34, v30                                    // 000000006BC8: D29D0010 00023C22
	v_cmp_lt_i32_e64 s[50:51], 0, v16                          // 000000006BD0: D0C10032 00022080
	v_cmp_lt_i32_e64 s[52:53], 1, v16                          // 000000006BD8: D0C10034 00022081
	v_cndmask_b32_e64 v80, v31, v80, s[50:51]                  // 000000006BE0: D1000050 00CAA11F
	v_cndmask_b32_e64 v81, v31, v81, s[52:53]                  // 000000006BE8: D1000051 00D2A31F
	v_cmp_lt_i32_e64 s[50:51], 2, v16                          // 000000006BF0: D0C10032 00022082
	v_cmp_lt_i32_e64 s[52:53], 3, v16                          // 000000006BF8: D0C10034 00022083
	v_cndmask_b32_e64 v82, v31, v82, s[50:51]                  // 000000006C00: D1000052 00CAA51F
	v_cndmask_b32_e64 v83, v31, v83, s[52:53]                  // 000000006C08: D1000053 00D2A71F
	v_cmp_lt_i32_e64 s[50:51], 8, v16                          // 000000006C10: D0C10032 00022088
	v_cmp_lt_i32_e64 s[52:53], 9, v16                          // 000000006C18: D0C10034 00022089
	v_cndmask_b32_e64 v84, v31, v84, s[50:51]                  // 000000006C20: D1000054 00CAA91F
	v_cndmask_b32_e64 v85, v31, v85, s[52:53]                  // 000000006C28: D1000055 00D2AB1F
	v_cmp_lt_i32_e64 s[50:51], 10, v16                         // 000000006C30: D0C10032 0002208A
	v_cmp_lt_i32_e64 s[52:53], 11, v16                         // 000000006C38: D0C10034 0002208B
	v_cndmask_b32_e64 v86, v31, v86, s[50:51]                  // 000000006C40: D1000056 00CAAD1F
	v_cndmask_b32_e64 v87, v31, v87, s[52:53]                  // 000000006C48: D1000057 00D2AF1F
	v_cmp_lt_i32_e64 s[50:51], 16, v16                         // 000000006C50: D0C10032 00022090
	v_cmp_lt_i32_e64 s[52:53], 17, v16                         // 000000006C58: D0C10034 00022091
	v_cndmask_b32_e64 v88, v31, v88, s[50:51]                  // 000000006C60: D1000058 00CAB11F
	v_cndmask_b32_e64 v89, v31, v89, s[52:53]                  // 000000006C68: D1000059 00D2B31F
	v_cmp_lt_i32_e64 s[50:51], 18, v16                         // 000000006C70: D0C10032 00022092
	v_cmp_lt_i32_e64 s[52:53], 19, v16                         // 000000006C78: D0C10034 00022093
	v_cndmask_b32_e64 v90, v31, v90, s[50:51]                  // 000000006C80: D100005A 00CAB51F
	v_cndmask_b32_e64 v91, v31, v91, s[52:53]                  // 000000006C88: D100005B 00D2B71F
	v_cmp_lt_i32_e64 s[50:51], 24, v16                         // 000000006C90: D0C10032 00022098
	v_cmp_lt_i32_e64 s[52:53], 25, v16                         // 000000006C98: D0C10034 00022099
	v_cndmask_b32_e64 v92, v31, v92, s[50:51]                  // 000000006CA0: D100005C 00CAB91F
	v_cndmask_b32_e64 v93, v31, v93, s[52:53]                  // 000000006CA8: D100005D 00D2BB1F
	v_cmp_lt_i32_e64 s[50:51], 26, v16                         // 000000006CB0: D0C10032 0002209A
	v_cmp_lt_i32_e64 s[52:53], 27, v16                         // 000000006CB8: D0C10034 0002209B
	v_cndmask_b32_e64 v94, v31, v94, s[50:51]                  // 000000006CC0: D100005E 00CABD1F
	v_cndmask_b32_e64 v95, v31, v95, s[52:53]                  // 000000006CC8: D100005F 00D2BF1F
	v_cmp_lt_i32_e64 s[50:51], 32, v16                         // 000000006CD0: D0C10032 000220A0
	v_cmp_lt_i32_e64 s[52:53], 33, v16                         // 000000006CD8: D0C10034 000220A1
	v_cndmask_b32_e64 v96, v31, v96, s[50:51]                  // 000000006CE0: D1000060 00CAC11F
	v_cndmask_b32_e64 v97, v31, v97, s[52:53]                  // 000000006CE8: D1000061 00D2C31F
	v_cmp_lt_i32_e64 s[50:51], 34, v16                         // 000000006CF0: D0C10032 000220A2
	v_cmp_lt_i32_e64 s[52:53], 35, v16                         // 000000006CF8: D0C10034 000220A3
	v_cndmask_b32_e64 v98, v31, v98, s[50:51]                  // 000000006D00: D1000062 00CAC51F
	v_cndmask_b32_e64 v99, v31, v99, s[52:53]                  // 000000006D08: D1000063 00D2C71F
	v_cmp_lt_i32_e64 s[50:51], 40, v16                         // 000000006D10: D0C10032 000220A8
	v_cmp_lt_i32_e64 s[52:53], 41, v16                         // 000000006D18: D0C10034 000220A9
	v_cndmask_b32_e64 v100, v31, v100, s[50:51]                // 000000006D20: D1000064 00CAC91F
	v_cndmask_b32_e64 v101, v31, v101, s[52:53]                // 000000006D28: D1000065 00D2CB1F
	v_cmp_lt_i32_e64 s[50:51], 42, v16                         // 000000006D30: D0C10032 000220AA
	v_cmp_lt_i32_e64 s[52:53], 43, v16                         // 000000006D38: D0C10034 000220AB
	v_cndmask_b32_e64 v102, v31, v102, s[50:51]                // 000000006D40: D1000066 00CACD1F
	v_cndmask_b32_e64 v103, v31, v103, s[52:53]                // 000000006D48: D1000067 00D2CF1F
	v_cmp_lt_i32_e64 s[50:51], 48, v16                         // 000000006D50: D0C10032 000220B0
	v_cmp_lt_i32_e64 s[52:53], 49, v16                         // 000000006D58: D0C10034 000220B1
	v_cndmask_b32_e64 v104, v31, v104, s[50:51]                // 000000006D60: D1000068 00CAD11F
	v_cndmask_b32_e64 v105, v31, v105, s[52:53]                // 000000006D68: D1000069 00D2D31F
	v_cmp_lt_i32_e64 s[50:51], 50, v16                         // 000000006D70: D0C10032 000220B2
	v_cmp_lt_i32_e64 s[52:53], 51, v16                         // 000000006D78: D0C10034 000220B3
	v_cndmask_b32_e64 v106, v31, v106, s[50:51]                // 000000006D80: D100006A 00CAD51F
	v_cndmask_b32_e64 v107, v31, v107, s[52:53]                // 000000006D88: D100006B 00D2D71F
	v_cmp_lt_i32_e64 s[50:51], 56, v16                         // 000000006D90: D0C10032 000220B8
	v_cmp_lt_i32_e64 s[52:53], 57, v16                         // 000000006D98: D0C10034 000220B9
	v_cndmask_b32_e64 v108, v31, v108, s[50:51]                // 000000006DA0: D100006C 00CAD91F
	v_cndmask_b32_e64 v109, v31, v109, s[52:53]                // 000000006DA8: D100006D 00D2DB1F
	v_cmp_lt_i32_e64 s[50:51], 58, v16                         // 000000006DB0: D0C10032 000220BA
	v_cmp_lt_i32_e64 s[52:53], 59, v16                         // 000000006DB8: D0C10034 000220BB
	v_cndmask_b32_e64 v110, v31, v110, s[50:51]                // 000000006DC0: D100006E 00CADD1F
	v_cndmask_b32_e64 v111, v31, v111, s[52:53]                // 000000006DC8: D100006F 00D2DF1F

0000000000006dd0 <label_0CB4>:
	s_nop 0                                                    // 000000006DD0: BF800000
	s_mov_b32 m0, s55                                          // 000000006DD4: BEFC0037
	ds_read_b32 v192, v13 offset:17408                         // 000000006DD8: D86C4400 C000000D
	ds_read_b32 v193, v13 offset:17664                         // 000000006DE0: D86C4500 C100000D
	ds_read_b32 v194, v13 offset:17920                         // 000000006DE8: D86C4600 C200000D
	ds_read_b32 v195, v13 offset:18176                         // 000000006DF0: D86C4700 C300000D
	ds_read_b32 v196, v13 offset:18432                         // 000000006DF8: D86C4800 C400000D
	ds_read_b32 v197, v13 offset:18688                         // 000000006E00: D86C4900 C500000D
	ds_read_b32 v198, v13 offset:18944                         // 000000006E08: D86C4A00 C600000D
	ds_read_b32 v199, v13 offset:19200                         // 000000006E10: D86C4B00 C700000D
	s_nop 15                                                   // 000000006E18: BF80000F
	s_nop 15                                                   // 000000006E1C: BF80000F
	buffer_load_dword v4, s[12:15], s57 offen lds              // 000000006E20: E0511000 39030004
	s_add_u32 m0, 0x880, m0                                    // 000000006E28: 807C7CFF 00000880
	ds_read_b32 v200, v13 offset:17440                         // 000000006E30: D86C4420 C800000D
	ds_read_b32 v201, v13 offset:17696                         // 000000006E38: D86C4520 C900000D
	ds_read_b32 v202, v13 offset:17952                         // 000000006E40: D86C4620 CA00000D
	ds_read_b32 v203, v13 offset:18208                         // 000000006E48: D86C4720 CB00000D
	buffer_load_dword v5, s[12:15], s57 offen lds              // 000000006E50: E0511000 39030005
	s_add_u32 m0, 0x880, m0                                    // 000000006E58: 807C7CFF 00000880
	ds_read_b32 v204, v13 offset:18464                         // 000000006E60: D86C4820 CC00000D
	ds_read_b32 v205, v13 offset:18720                         // 000000006E68: D86C4920 CD00000D
	ds_read_b32 v206, v13 offset:18976                         // 000000006E70: D86C4A20 CE00000D
	ds_read_b32 v207, v13 offset:19232                         // 000000006E78: D86C4B20 CF00000D
	buffer_load_dword v6, s[12:15], s57 offen lds              // 000000006E80: E0511000 39030006
	s_add_u32 m0, 0x880, m0                                    // 000000006E88: 807C7CFF 00000880
	ds_read_b32 v208, v13 offset:17472                         // 000000006E90: D86C4440 D000000D
	ds_read_b32 v209, v13 offset:17728                         // 000000006E98: D86C4540 D100000D
	ds_read_b32 v210, v13 offset:17984                         // 000000006EA0: D86C4640 D200000D
	ds_read_b32 v211, v13 offset:18240                         // 000000006EA8: D86C4740 D300000D
	buffer_load_dword v7, s[12:15], s57 offen lds              // 000000006EB0: E0511000 39030007
	s_add_u32 m0, 0x880, m0                                    // 000000006EB8: 807C7CFF 00000880
	ds_read_b32 v212, v13 offset:18496                         // 000000006EC0: D86C4840 D400000D
	ds_read_b32 v213, v13 offset:18752                         // 000000006EC8: D86C4940 D500000D
	ds_read_b32 v214, v13 offset:19008                         // 000000006ED0: D86C4A40 D600000D
	ds_read_b32 v215, v13 offset:19264                         // 000000006ED8: D86C4B40 D700000D
	ds_read_b32 v216, v13 offset:17504                         // 000000006EE0: D86C4460 D800000D
	ds_read_b32 v217, v13 offset:17760                         // 000000006EE8: D86C4560 D900000D
	ds_read_b32 v218, v13 offset:18016                         // 000000006EF0: D86C4660 DA00000D
	ds_read_b32 v219, v13 offset:18272                         // 000000006EF8: D86C4760 DB00000D
	ds_read_b32 v220, v13 offset:18528                         // 000000006F00: D86C4860 DC00000D
	ds_read_b32 v221, v13 offset:18784                         // 000000006F08: D86C4960 DD00000D
	ds_read_b32 v222, v13 offset:19040                         // 000000006F10: D86C4A60 DE00000D
	ds_read_b32 v223, v13 offset:19296                         // 000000006F18: D86C4B60 DF00000D
	s_add_i32 s57, s64, s57                                    // 000000006F20: 81393940
	s_add_u32 s34, 0x100, s63                                  // 000000006F24: 80223FFF 00000100
	s_cmp_lt_u32 s34, s62                                      // 000000006F2C: BF0A3E22
	s_cselect_b32 s64, s64, 0                                  // 000000006F30: 85408040
	s_add_i32 s72, s72, s73                                    // 000000006F34: 81484948
	s_addk_i32 s63, 0x40                                       // 000000006F38: B73F0040
	s_cmp_lt_i32 s63, s62                                      // 000000006F3C: BF043E3F
	s_waitcnt vmcnt(8) lgkmcnt(0)                              // 000000006F40: BF8C0078
	s_barrier                                                  // 000000006F44: BF8A0000
	v_mfma_f32_32x32x16_fp8_fp8 v[112:127], v[192:193], v[48:49], v[112:127]// 000000006F48: D3F70070 05C261C0
	v_max3_f32 v25, v80, v81, v28                              // 000000006F50: D1D30019 0472A350
	v_max3_f32 v25, v82, v83, v25                              // 000000006F58: D1D30019 0466A752
	v_max3_f32 v25, v84, v85, v25                              // 000000006F60: D1D30019 0466AB54
	v_max3_f32 v25, v86, v87, v25                              // 000000006F68: D1D30019 0466AF56
	v_max3_f32 v25, v88, v89, v25                              // 000000006F70: D1D30019 0466B358
	v_max3_f32 v25, v90, v91, v25                              // 000000006F78: D1D30019 0466B75A
	v_max3_f32 v25, v92, v93, v25                              // 000000006F80: D1D30019 0466BB5C
	v_mfma_f32_32x32x16_fp8_fp8 v[112:127], v[194:195], v[50:51], v[112:127]// 000000006F88: D3F70070 05C265C2
	v_max3_f32 v25, v94, v95, v25                              // 000000006F90: D1D30019 0466BF5E
	v_max3_f32 v25, v96, v97, v25                              // 000000006F98: D1D30019 0466C360
	v_max3_f32 v25, v98, v99, v25                              // 000000006FA0: D1D30019 0466C762
	v_max3_f32 v25, v100, v101, v25                            // 000000006FA8: D1D30019 0466CB64
	v_max3_f32 v25, v102, v103, v25                            // 000000006FB0: D1D30019 0466CF66
	v_max3_f32 v25, v104, v105, v25                            // 000000006FB8: D1D30019 0466D368
	v_max3_f32 v25, v106, v107, v25                            // 000000006FC0: D1D30019 0466D76A
	v_mfma_f32_32x32x16_fp8_fp8 v[112:127], v[196:197], v[52:53], v[112:127]// 000000006FC8: D3F70070 05C269C4
	v_max3_f32 v25, v108, v109, v25                            // 000000006FD0: D1D30019 0466DB6C
	v_max3_f32 v25, v110, v111, v25                            // 000000006FD8: D1D30019 0466DF6E
	ds_permute_b32 v24, v32, v25                               // 000000006FE0: D87C0000 18001920
	v_mfma_f32_32x32x16_fp8_fp8 v[112:127], v[198:199], v[54:55], v[112:127]// 000000006FE8: D3F70070 05C26DC6
	v_nop                                                      // 000000006FF0: 7E000000
	s_nop 0                                                    // 000000006FF4: BF800000
	v_mfma_f32_32x32x16_fp8_fp8 v[128:143], v[200:201], v[48:49], v[128:143]// 000000006FF8: D3F70080 060261C8
	v_nop                                                      // 000000007000: 7E000000
	v_mfma_f32_32x32x16_fp8_fp8 v[128:143], v[202:203], v[50:51], v[128:143]// 000000007004: D3F70080 060265CA
	s_waitcnt lgkmcnt(0)                                       // 00000000700C: BF8CC07F
	v_max_f32_e32 v25, v24, v25                                // 000000007010: 16323318
	v_sub_f32_e32 v20, v28, v25                                // 000000007014: 0428331C
	v_mov_b32_e32 v28, v25                                     // 000000007018: 7E380319
	v_mul_f32_e32 v27, s74, v25                                // 00000000701C: 0A36324A
	v_mul_f32_e32 v20, s74, v20                                // 000000007020: 0A28284A
	v_mfma_f32_32x32x16_fp8_fp8 v[128:143], v[204:205], v[52:53], v[128:143]// 000000007024: D3F70080 060269CC
	v_exp_f32_e32 v20, v20                                     // 00000000702C: 7E284114
	v_fma_f32 v80, v80, s74, -v27                              // 000000007030: D1CB0050 846C9550
	v_fma_f32 v81, v81, s74, -v27                              // 000000007038: D1CB0051 846C9551
	v_fma_f32 v82, v82, s74, -v27                              // 000000007040: D1CB0052 846C9552
	v_mfma_f32_32x32x16_fp8_fp8 v[128:143], v[206:207], v[54:55], v[128:143]// 000000007048: D3F70080 06026DCE
	v_fma_f32 v83, v83, s74, -v27                              // 000000007050: D1CB0053 846C9553
	v_fma_f32 v84, v84, s74, -v27                              // 000000007058: D1CB0054 846C9554
	v_fma_f32 v85, v85, s74, -v27                              // 000000007060: D1CB0055 846C9555
	v_fma_f32 v86, v86, s74, -v27                              // 000000007068: D1CB0056 846C9556
	v_fma_f32 v87, v87, s74, -v27                              // 000000007070: D1CB0057 846C9557
	v_fma_f32 v88, v88, s74, -v27                              // 000000007078: D1CB0058 846C9558
	v_fma_f32 v89, v89, s74, -v27                              // 000000007080: D1CB0059 846C9559
	v_mfma_f32_32x32x16_fp8_fp8 v[144:159], v[208:209], v[48:49], v[144:159]// 000000007088: D3F70090 064261D0
	v_fma_f32 v90, v90, s74, -v27                              // 000000007090: D1CB005A 846C955A
	v_fma_f32 v91, v91, s74, -v27                              // 000000007098: D1CB005B 846C955B
	v_fma_f32 v92, v92, s74, -v27                              // 0000000070A0: D1CB005C 846C955C
	v_fma_f32 v93, v93, s74, -v27                              // 0000000070A8: D1CB005D 846C955D
	v_fma_f32 v94, v94, s74, -v27                              // 0000000070B0: D1CB005E 846C955E
	v_fma_f32 v95, v95, s74, -v27                              // 0000000070B8: D1CB005F 846C955F
	v_fma_f32 v96, v96, s74, -v27                              // 0000000070C0: D1CB0060 846C9560
	v_mfma_f32_32x32x16_fp8_fp8 v[144:159], v[210:211], v[50:51], v[144:159]// 0000000070C8: D3F70090 064265D2
	v_fma_f32 v97, v97, s74, -v27                              // 0000000070D0: D1CB0061 846C9561
	v_fma_f32 v98, v98, s74, -v27                              // 0000000070D8: D1CB0062 846C9562
	v_fma_f32 v99, v99, s74, -v27                              // 0000000070E0: D1CB0063 846C9563
	v_fma_f32 v100, v100, s74, -v27                            // 0000000070E8: D1CB0064 846C9564
	v_fma_f32 v101, v101, s74, -v27                            // 0000000070F0: D1CB0065 846C9565
	v_fma_f32 v102, v102, s74, -v27                            // 0000000070F8: D1CB0066 846C9566
	v_fma_f32 v103, v103, s74, -v27                            // 000000007100: D1CB0067 846C9567
	v_mfma_f32_32x32x16_fp8_fp8 v[144:159], v[212:213], v[52:53], v[144:159]// 000000007108: D3F70090 064269D4
	v_fma_f32 v104, v104, s74, -v27                            // 000000007110: D1CB0068 846C9568
	v_fma_f32 v105, v105, s74, -v27                            // 000000007118: D1CB0069 846C9569
	v_fma_f32 v106, v106, s74, -v27                            // 000000007120: D1CB006A 846C956A
	v_fma_f32 v107, v107, s74, -v27                            // 000000007128: D1CB006B 846C956B
	v_fma_f32 v108, v108, s74, -v27                            // 000000007130: D1CB006C 846C956C
	v_fma_f32 v109, v109, s74, -v27                            // 000000007138: D1CB006D 846C956D
	v_fma_f32 v110, v110, s74, -v27                            // 000000007140: D1CB006E 846C956E
	v_mfma_f32_32x32x16_fp8_fp8 v[144:159], v[214:215], v[54:55], v[144:159]// 000000007148: D3F70090 06426DD6
	v_fma_f32 v111, v111, s74, -v27                            // 000000007150: D1CB006F 846C956F
	v_exp_f32_e32 v80, v80                                     // 000000007158: 7EA04150
	v_exp_f32_e32 v81, v81                                     // 00000000715C: 7EA24151
	v_mfma_f32_32x32x16_fp8_fp8 v[160:175], v[216:217], v[48:49], v[160:175]// 000000007160: D3F700A0 068261D8
	v_exp_f32_e32 v82, v82                                     // 000000007168: 7EA44152
	v_exp_f32_e32 v83, v83                                     // 00000000716C: 7EA64153
	v_mfma_f32_32x32x16_fp8_fp8 v[160:175], v[218:219], v[50:51], v[160:175]// 000000007170: D3F700A0 068265DA
	v_exp_f32_e32 v84, v84                                     // 000000007178: 7EA84154
	v_exp_f32_e32 v85, v85                                     // 00000000717C: 7EAA4155
	v_mfma_f32_32x32x16_fp8_fp8 v[160:175], v[220:221], v[52:53], v[160:175]// 000000007180: D3F700A0 068269DC
	v_exp_f32_e32 v86, v86                                     // 000000007188: 7EAC4156
	v_exp_f32_e32 v87, v87                                     // 00000000718C: 7EAE4157
	v_mfma_f32_32x32x16_fp8_fp8 v[160:175], v[222:223], v[54:55], v[160:175]// 000000007190: D3F700A0 06826DDE
	s_cbranch_scc0 label_10A2                                  // 000000007198: BF8402FB
	s_barrier                                                  // 00000000719C: BF8A0000
	buffer_load_dword v224, v8, s[16:19], s32 offen            // 0000000071A0: E0501000 2004E008
	ds_read_b128 v[192:195], v12                               // 0000000071A8: D9FE0000 C000000C
	ds_read_b128 v[196:199], v12 offset:32                     // 0000000071B0: D9FE0020 C400000C
	buffer_load_dword v225, v9, s[16:19], s32 offen            // 0000000071B8: E0501000 2004E109
	ds_read_b128 v[200:203], v12 offset:64                     // 0000000071C0: D9FE0040 C800000C
	ds_read_b128 v[204:207], v12 offset:96                     // 0000000071C8: D9FE0060 CC00000C
	buffer_load_dword v226, v10, s[16:19], s32 offen           // 0000000071D0: E0501000 2004E20A
	ds_read_b128 v[208:211], v12 offset:4352                   // 0000000071D8: D9FE1100 D000000C
	ds_read_b128 v[212:215], v12 offset:4384                   // 0000000071E0: D9FE1120 D400000C
	buffer_load_dword v227, v11, s[16:19], s32 offen           // 0000000071E8: E0501000 2004E30B
	ds_read_b128 v[216:219], v12 offset:4416                   // 0000000071F0: D9FE1140 D800000C
	ds_read_b128 v[220:223], v12 offset:4448                   // 0000000071F8: D9FE1160 DC00000C
	s_add_i32 s32, s65, s32                                    // 000000007200: 81202041
	s_add_u32 s34, 0x80, s63                                   // 000000007204: 80223FFF 00000080
	s_nop 0                                                    // 00000000720C: BF800000
	s_cmp_lt_u32 s34, s62                                      // 000000007210: BF0A3E22
	s_cselect_b32 s65, s65, 0                                  // 000000007214: 85418041
	s_waitcnt vmcnt(8) lgkmcnt(0)                              // 000000007218: BF8C0078
	s_barrier                                                  // 00000000721C: BF8A0000
	v_perm_b32 v16, v229, v228, s69                            // 000000007220: D1ED0010 0117C9E5
	v_perm_b32 v17, v229, v228, s70                            // 000000007228: D1ED0011 011BC9E5
	v_perm_b32 v18, v231, v230, s69                            // 000000007230: D1ED0012 0117CDE7
	v_perm_b32 v19, v231, v230, s70                            // 000000007238: D1ED0013 011BCDE7
	v_perm_b32 v232, v18, v16, s68                             // 000000007240: D1ED00E8 01122112
	v_perm_b32 v233, v18, v16, s67                             // 000000007248: D1ED00E9 010E2112
	v_perm_b32 v234, v19, v17, s68                             // 000000007250: D1ED00EA 01122313
	v_perm_b32 v235, v19, v17, s67                             // 000000007258: D1ED00EB 010E2313
	ds_write_b32 v14, v232 offset:17408                        // 000000007260: D81A4400 0000E80E
	ds_write_b32 v14, v233 offset:19488                        // 000000007268: D81A4C20 0000E90E
	ds_write_b32 v14, v234 offset:21568                        // 000000007270: D81A5440 0000EA0E
	ds_write_b32 v14, v235 offset:23648                        // 000000007278: D81A5C60 0000EB0E
	s_barrier                                                  // 000000007280: BF8A0000
	v_mfma_f32_32x32x16_fp8_fp8 v[48:63], v[192:193], v[176:177], 0// 000000007284: D3F70030 020361C0
	v_exp_f32_e32 v88, v88                                     // 00000000728C: 7EB04158
	v_exp_f32_e32 v89, v89                                     // 000000007290: 7EB24159
	v_mfma_f32_32x32x16_fp8_fp8 v[48:63], v[194:195], v[178:179], v[48:63]// 000000007294: D3F70030 04C365C2
	v_exp_f32_e32 v90, v90                                     // 00000000729C: 7EB4415A
	v_exp_f32_e32 v91, v91                                     // 0000000072A0: 7EB6415B
	v_mfma_f32_32x32x16_fp8_fp8 v[48:63], v[196:197], v[180:181], v[48:63]// 0000000072A4: D3F70030 04C369C4
	v_exp_f32_e32 v92, v92                                     // 0000000072AC: 7EB8415C
	v_exp_f32_e32 v93, v93                                     // 0000000072B0: 7EBA415D
	v_mfma_f32_32x32x16_fp8_fp8 v[48:63], v[198:199], v[182:183], v[48:63]// 0000000072B4: D3F70030 04C36DC6
	s_waitcnt lgkmcnt(0)                                       // 0000000072BC: BF8CC07F
	s_barrier                                                  // 0000000072C0: BF8A0000
	v_mfma_f32_32x32x16_fp8_fp8 v[48:63], v[200:201], v[184:185], v[48:63]// 0000000072C4: D3F70030 04C371C8
	v_exp_f32_e32 v94, v94                                     // 0000000072CC: 7EBC415E
	v_exp_f32_e32 v95, v95                                     // 0000000072D0: 7EBE415F
	v_mfma_f32_32x32x16_fp8_fp8 v[48:63], v[202:203], v[186:187], v[48:63]// 0000000072D4: D3F70030 04C375CA
	v_exp_f32_e32 v96, v96                                     // 0000000072DC: 7EC04160
	v_exp_f32_e32 v97, v97                                     // 0000000072E0: 7EC24161
	v_mfma_f32_32x32x16_fp8_fp8 v[48:63], v[204:205], v[188:189], v[48:63]// 0000000072E4: D3F70030 04C379CC
	v_exp_f32_e32 v98, v98                                     // 0000000072EC: 7EC44162
	v_exp_f32_e32 v99, v99                                     // 0000000072F0: 7EC64163
	v_mfma_f32_32x32x16_fp8_fp8 v[48:63], v[206:207], v[190:191], v[48:63]// 0000000072F4: D3F70030 04C37DCE
	v_exp_f32_e32 v100, v100                                   // 0000000072FC: 7EC84164
	v_exp_f32_e32 v101, v101                                   // 000000007300: 7ECA4165
	v_mfma_f32_32x32x16_fp8_fp8 v[64:79], v[208:209], v[176:177], 0// 000000007304: D3F70040 020361D0
	v_exp_f32_e32 v102, v102                                   // 00000000730C: 7ECC4166
	v_exp_f32_e32 v103, v103                                   // 000000007310: 7ECE4167
	v_mfma_f32_32x32x16_fp8_fp8 v[64:79], v[210:211], v[178:179], v[64:79]// 000000007314: D3F70040 050365D2
	v_exp_f32_e32 v104, v104                                   // 00000000731C: 7ED04168
	v_exp_f32_e32 v105, v105                                   // 000000007320: 7ED24169
	v_mfma_f32_32x32x16_fp8_fp8 v[64:79], v[212:213], v[180:181], v[64:79]// 000000007324: D3F70040 050369D4
	v_exp_f32_e32 v106, v106                                   // 00000000732C: 7ED4416A
	v_exp_f32_e32 v107, v107                                   // 000000007330: 7ED6416B
	v_mfma_f32_32x32x16_fp8_fp8 v[64:79], v[214:215], v[182:183], v[64:79]// 000000007334: D3F70040 05036DD6
	v_exp_f32_e32 v108, v108                                   // 00000000733C: 7ED8416C
	v_exp_f32_e32 v109, v109                                   // 000000007340: 7EDA416D
	v_mfma_f32_32x32x16_fp8_fp8 v[64:79], v[216:217], v[184:185], v[64:79]// 000000007344: D3F70040 050371D8
	v_exp_f32_e32 v110, v110                                   // 00000000734C: 7EDC416E
	v_exp_f32_e32 v111, v111                                   // 000000007350: 7EDE416F
	v_mfma_f32_32x32x16_fp8_fp8 v[64:79], v[218:219], v[186:187], v[64:79]// 000000007354: D3F70040 050375DA
	v_mul_f32_e32 v22, v20, v22                                // 00000000735C: 0A2C2D14
	v_add_f32_e32 v38, v81, v80                                // 000000007360: 024CA151
	v_add_f32_e32 v38, v82, v38                                // 000000007364: 024C4D52
	v_add_f32_e32 v38, v83, v38                                // 000000007368: 024C4D53
	v_add_f32_e32 v38, v84, v38                                // 00000000736C: 024C4D54
	v_add_f32_e32 v38, v85, v38                                // 000000007370: 024C4D55
	v_add_f32_e32 v38, v86, v38                                // 000000007374: 024C4D56
	v_mfma_f32_32x32x16_fp8_fp8 v[64:79], v[220:221], v[188:189], v[64:79]// 000000007378: D3F70040 050379DC
	v_add_f32_e32 v38, v87, v38                                // 000000007380: 024C4D57
	v_add_f32_e32 v38, v88, v38                                // 000000007384: 024C4D58
	v_add_f32_e32 v38, v89, v38                                // 000000007388: 024C4D59
	v_add_f32_e32 v38, v90, v38                                // 00000000738C: 024C4D5A
	v_add_f32_e32 v38, v91, v38                                // 000000007390: 024C4D5B
	v_add_f32_e32 v38, v92, v38                                // 000000007394: 024C4D5C
	v_add_f32_e32 v38, v93, v38                                // 000000007398: 024C4D5D
	v_mfma_f32_32x32x16_fp8_fp8 v[64:79], v[222:223], v[190:191], v[64:79]// 00000000739C: D3F70040 05037DDE
	v_add_f32_e32 v38, v94, v38                                // 0000000073A4: 024C4D5E
	v_add_f32_e32 v38, v95, v38                                // 0000000073A8: 024C4D5F
	v_add_f32_e32 v38, v96, v38                                // 0000000073AC: 024C4D60
	v_add_f32_e32 v38, v97, v38                                // 0000000073B0: 024C4D61
	v_add_f32_e32 v38, v98, v38                                // 0000000073B4: 024C4D62
	v_add_f32_e32 v38, v99, v38                                // 0000000073B8: 024C4D63
	v_add_f32_e32 v38, v100, v38                               // 0000000073BC: 024C4D64
	v_add_f32_e32 v38, v101, v38                               // 0000000073C0: 024C4D65
	v_add_f32_e32 v38, v102, v38                               // 0000000073C4: 024C4D66
	v_add_f32_e32 v38, v103, v38                               // 0000000073C8: 024C4D67
	v_add_f32_e32 v38, v104, v38                               // 0000000073CC: 024C4D68
	v_add_f32_e32 v38, v105, v38                               // 0000000073D0: 024C4D69
	v_add_f32_e32 v38, v106, v38                               // 0000000073D4: 024C4D6A
	v_add_f32_e32 v38, v107, v38                               // 0000000073D8: 024C4D6B
	v_add_f32_e32 v38, v108, v38                               // 0000000073DC: 024C4D6C
	v_add_f32_e32 v38, v109, v38                               // 0000000073E0: 024C4D6D
	v_add_f32_e32 v38, v110, v38                               // 0000000073E4: 024C4D6E
	v_add_f32_e32 v38, v111, v38                               // 0000000073E8: 024C4D6F
	v_add_f32_e32 v22, v38, v22                                // 0000000073EC: 022C2D26
	v_cvt_pk_fp8_f32 v80, v80, v81                             // 0000000073F0: D2A20050 0002A350
	v_cvt_pk_fp8_f32 v80, v82, v83 op_sel:[0,0,1]              // 0000000073F8: D2A24050 0002A752
	v_cvt_pk_fp8_f32 v81, v84, v85                             // 000000007400: D2A20051 0002AB54
	v_cvt_pk_fp8_f32 v81, v86, v87 op_sel:[0,0,1]              // 000000007408: D2A24051 0002AF56
	v_cvt_pk_fp8_f32 v82, v88, v89                             // 000000007410: D2A20052 0002B358
	v_cvt_pk_fp8_f32 v82, v90, v91 op_sel:[0,0,1]              // 000000007418: D2A24052 0002B75A
	v_cvt_pk_fp8_f32 v83, v92, v93                             // 000000007420: D2A20053 0002BB5C
	v_cvt_pk_fp8_f32 v83, v94, v95 op_sel:[0,0,1]              // 000000007428: D2A24053 0002BF5E
	v_cvt_pk_fp8_f32 v84, v96, v97                             // 000000007430: D2A20054 0002C360
	v_cvt_pk_fp8_f32 v84, v98, v99 op_sel:[0,0,1]              // 000000007438: D2A24054 0002C762
	v_cvt_pk_fp8_f32 v85, v100, v101                           // 000000007440: D2A20055 0002CB64
	v_cvt_pk_fp8_f32 v85, v102, v103 op_sel:[0,0,1]            // 000000007448: D2A24055 0002CF66
	v_cvt_pk_fp8_f32 v86, v104, v105                           // 000000007450: D2A20056 0002D368
	v_cvt_pk_fp8_f32 v86, v106, v107 op_sel:[0,0,1]            // 000000007458: D2A24056 0002D76A
	v_cvt_pk_fp8_f32 v87, v108, v109                           // 000000007460: D2A20057 0002DB6C
	v_cvt_pk_fp8_f32 v87, v110, v111 op_sel:[0,0,1]            // 000000007468: D2A24057 0002DF6E
	s_nop 0                                                    // 000000007470: BF800000
	v_mov_b32_e32 v21, v20                                     // 000000007474: 7E2A0314
	v_mul_f32_e32 v112, v20, v112                              // 000000007478: 0AE0E114
	v_mul_f32_e32 v113, v20, v113                              // 00000000747C: 0AE2E314
	v_pk_mul_f32 v[114:115], v[20:21], v[114:115]              // 000000007480: D3B14072 1802E514
	v_pk_mul_f32 v[116:117], v[20:21], v[116:117]              // 000000007488: D3B14074 1802E914
	v_pk_mul_f32 v[118:119], v[20:21], v[118:119]              // 000000007490: D3B14076 1802ED14
	v_pk_mul_f32 v[120:121], v[20:21], v[120:121]              // 000000007498: D3B14078 1802F114
	v_pk_mul_f32 v[122:123], v[20:21], v[122:123]              // 0000000074A0: D3B1407A 1802F514
	v_pk_mul_f32 v[124:125], v[20:21], v[124:125]              // 0000000074A8: D3B1407C 1802F914
	v_pk_mul_f32 v[126:127], v[20:21], v[126:127]              // 0000000074B0: D3B1407E 1802FD14
	v_pk_mul_f32 v[128:129], v[20:21], v[128:129]              // 0000000074B8: D3B14080 18030114
	v_pk_mul_f32 v[130:131], v[20:21], v[130:131]              // 0000000074C0: D3B14082 18030514
	v_pk_mul_f32 v[132:133], v[20:21], v[132:133]              // 0000000074C8: D3B14084 18030914
	v_pk_mul_f32 v[134:135], v[20:21], v[134:135]              // 0000000074D0: D3B14086 18030D14
	v_pk_mul_f32 v[136:137], v[20:21], v[136:137]              // 0000000074D8: D3B14088 18031114
	v_pk_mul_f32 v[138:139], v[20:21], v[138:139]              // 0000000074E0: D3B1408A 18031514
	v_pk_mul_f32 v[140:141], v[20:21], v[140:141]              // 0000000074E8: D3B1408C 18031914
	v_pk_mul_f32 v[142:143], v[20:21], v[142:143]              // 0000000074F0: D3B1408E 18031D14
	v_pk_mul_f32 v[144:145], v[20:21], v[144:145]              // 0000000074F8: D3B14090 18032114
	v_pk_mul_f32 v[146:147], v[20:21], v[146:147]              // 000000007500: D3B14092 18032514
	v_pk_mul_f32 v[148:149], v[20:21], v[148:149]              // 000000007508: D3B14094 18032914
	v_pk_mul_f32 v[150:151], v[20:21], v[150:151]              // 000000007510: D3B14096 18032D14
	v_pk_mul_f32 v[152:153], v[20:21], v[152:153]              // 000000007518: D3B14098 18033114
	v_pk_mul_f32 v[154:155], v[20:21], v[154:155]              // 000000007520: D3B1409A 18033514
	v_pk_mul_f32 v[156:157], v[20:21], v[156:157]              // 000000007528: D3B1409C 18033914
	v_pk_mul_f32 v[158:159], v[20:21], v[158:159]              // 000000007530: D3B1409E 18033D14
	v_pk_mul_f32 v[160:161], v[20:21], v[160:161]              // 000000007538: D3B140A0 18034114
	v_pk_mul_f32 v[162:163], v[20:21], v[162:163]              // 000000007540: D3B140A2 18034514
	v_pk_mul_f32 v[164:165], v[20:21], v[164:165]              // 000000007548: D3B140A4 18034914
	v_pk_mul_f32 v[166:167], v[20:21], v[166:167]              // 000000007550: D3B140A6 18034D14
	v_pk_mul_f32 v[168:169], v[20:21], v[168:169]              // 000000007558: D3B140A8 18035114
	v_pk_mul_f32 v[170:171], v[20:21], v[170:171]              // 000000007560: D3B140AA 18035514
	v_pk_mul_f32 v[172:173], v[20:21], v[172:173]              // 000000007568: D3B140AC 18035914
	v_pk_mul_f32 v[174:175], v[20:21], v[174:175]              // 000000007570: D3B140AE 18035D14
	s_barrier                                                  // 000000007578: BF8A0000
	s_nop 0                                                    // 00000000757C: BF800000
	s_cmp_lt_i32 s72, s71                                      // 000000007580: BF044748
	s_cbranch_scc1 label_0FAE                                  // 000000007584: BF85010C
	s_sub_i32 s34, s71, s72                                    // 000000007588: 81A24847
	s_sub_i32 s35, s7, s29                                     // 00000000758C: 81A31D07
	s_and_b32 s35, s35, 63                                     // 000000007590: 8623BF23
	s_add_i32 s34, s34, s35                                    // 000000007594: 81222322
	v_add_i32 v16, v29, s34                                    // 000000007598: D29C0010 0000451D
	v_cmp_lt_i32_e64 s[50:51], v16, 0                          // 0000000075A0: D0C10032 00010110
	v_cmp_lt_i32_e64 s[52:53], v16, 1                          // 0000000075A8: D0C10034 00010310
	v_cndmask_b32_e64 v48, v48, v31, s[50:51]                  // 0000000075B0: D1000030 00CA3F30
	v_cndmask_b32_e64 v49, v49, v31, s[52:53]                  // 0000000075B8: D1000031 00D23F31
	v_cmp_lt_i32_e64 s[50:51], v16, 2                          // 0000000075C0: D0C10032 00010510
	v_cmp_lt_i32_e64 s[52:53], v16, 3                          // 0000000075C8: D0C10034 00010710
	v_cndmask_b32_e64 v50, v50, v31, s[50:51]                  // 0000000075D0: D1000032 00CA3F32
	v_cndmask_b32_e64 v51, v51, v31, s[52:53]                  // 0000000075D8: D1000033 00D23F33
	v_cmp_lt_i32_e64 s[50:51], v16, 8                          // 0000000075E0: D0C10032 00011110
	v_cmp_lt_i32_e64 s[52:53], v16, 9                          // 0000000075E8: D0C10034 00011310
	v_cndmask_b32_e64 v52, v52, v31, s[50:51]                  // 0000000075F0: D1000034 00CA3F34
	v_cndmask_b32_e64 v53, v53, v31, s[52:53]                  // 0000000075F8: D1000035 00D23F35
	v_cmp_lt_i32_e64 s[50:51], v16, 10                         // 000000007600: D0C10032 00011510
	v_cmp_lt_i32_e64 s[52:53], v16, 11                         // 000000007608: D0C10034 00011710
	v_cndmask_b32_e64 v54, v54, v31, s[50:51]                  // 000000007610: D1000036 00CA3F36
	v_cndmask_b32_e64 v55, v55, v31, s[52:53]                  // 000000007618: D1000037 00D23F37
	v_cmp_lt_i32_e64 s[50:51], v16, 16                         // 000000007620: D0C10032 00012110
	v_cmp_lt_i32_e64 s[52:53], v16, 17                         // 000000007628: D0C10034 00012310
	v_cndmask_b32_e64 v56, v56, v31, s[50:51]                  // 000000007630: D1000038 00CA3F38
	v_cndmask_b32_e64 v57, v57, v31, s[52:53]                  // 000000007638: D1000039 00D23F39
	v_cmp_lt_i32_e64 s[50:51], v16, 18                         // 000000007640: D0C10032 00012510
	v_cmp_lt_i32_e64 s[52:53], v16, 19                         // 000000007648: D0C10034 00012710
	v_cndmask_b32_e64 v58, v58, v31, s[50:51]                  // 000000007650: D100003A 00CA3F3A
	v_cndmask_b32_e64 v59, v59, v31, s[52:53]                  // 000000007658: D100003B 00D23F3B
	v_cmp_lt_i32_e64 s[50:51], v16, 24                         // 000000007660: D0C10032 00013110
	v_cmp_lt_i32_e64 s[52:53], v16, 25                         // 000000007668: D0C10034 00013310
	v_cndmask_b32_e64 v60, v60, v31, s[50:51]                  // 000000007670: D100003C 00CA3F3C
	v_cndmask_b32_e64 v61, v61, v31, s[52:53]                  // 000000007678: D100003D 00D23F3D
	v_cmp_lt_i32_e64 s[50:51], v16, 26                         // 000000007680: D0C10032 00013510
	v_cmp_lt_i32_e64 s[52:53], v16, 27                         // 000000007688: D0C10034 00013710
	v_cndmask_b32_e64 v62, v62, v31, s[50:51]                  // 000000007690: D100003E 00CA3F3E
	v_cndmask_b32_e64 v63, v63, v31, s[52:53]                  // 000000007698: D100003F 00D23F3F
	v_cmp_lt_i32_e64 s[50:51], v16, 32                         // 0000000076A0: D0C10032 00014110
	v_cmp_lt_i32_e64 s[52:53], v16, 33                         // 0000000076A8: D0C10034 00014310
	v_cndmask_b32_e64 v64, v64, v31, s[50:51]                  // 0000000076B0: D1000040 00CA3F40
	v_cndmask_b32_e64 v65, v65, v31, s[52:53]                  // 0000000076B8: D1000041 00D23F41
	v_cmp_lt_i32_e64 s[50:51], v16, 34                         // 0000000076C0: D0C10032 00014510
	v_cmp_lt_i32_e64 s[52:53], v16, 35                         // 0000000076C8: D0C10034 00014710
	v_cndmask_b32_e64 v66, v66, v31, s[50:51]                  // 0000000076D0: D1000042 00CA3F42
	v_cndmask_b32_e64 v67, v67, v31, s[52:53]                  // 0000000076D8: D1000043 00D23F43
	v_cmp_lt_i32_e64 s[50:51], v16, 40                         // 0000000076E0: D0C10032 00015110
	v_cmp_lt_i32_e64 s[52:53], v16, 41                         // 0000000076E8: D0C10034 00015310
	v_cndmask_b32_e64 v68, v68, v31, s[50:51]                  // 0000000076F0: D1000044 00CA3F44
	v_cndmask_b32_e64 v69, v69, v31, s[52:53]                  // 0000000076F8: D1000045 00D23F45
	v_cmp_lt_i32_e64 s[50:51], v16, 42                         // 000000007700: D0C10032 00015510
	v_cmp_lt_i32_e64 s[52:53], v16, 43                         // 000000007708: D0C10034 00015710
	v_cndmask_b32_e64 v70, v70, v31, s[50:51]                  // 000000007710: D1000046 00CA3F46
	v_cndmask_b32_e64 v71, v71, v31, s[52:53]                  // 000000007718: D1000047 00D23F47
	v_cmp_lt_i32_e64 s[50:51], v16, 48                         // 000000007720: D0C10032 00016110
	v_cmp_lt_i32_e64 s[52:53], v16, 49                         // 000000007728: D0C10034 00016310
	v_cndmask_b32_e64 v72, v72, v31, s[50:51]                  // 000000007730: D1000048 00CA3F48
	v_cndmask_b32_e64 v73, v73, v31, s[52:53]                  // 000000007738: D1000049 00D23F49
	v_cmp_lt_i32_e64 s[50:51], v16, 50                         // 000000007740: D0C10032 00016510
	v_cmp_lt_i32_e64 s[52:53], v16, 51                         // 000000007748: D0C10034 00016710
	v_cndmask_b32_e64 v74, v74, v31, s[50:51]                  // 000000007750: D100004A 00CA3F4A
	v_cndmask_b32_e64 v75, v75, v31, s[52:53]                  // 000000007758: D100004B 00D23F4B
	v_cmp_lt_i32_e64 s[50:51], v16, 56                         // 000000007760: D0C10032 00017110
	v_cmp_lt_i32_e64 s[52:53], v16, 57                         // 000000007768: D0C10034 00017310
	v_cndmask_b32_e64 v76, v76, v31, s[50:51]                  // 000000007770: D100004C 00CA3F4C
	v_cndmask_b32_e64 v77, v77, v31, s[52:53]                  // 000000007778: D100004D 00D23F4D
	v_cmp_lt_i32_e64 s[50:51], v16, 58                         // 000000007780: D0C10032 00017510
	v_cmp_lt_i32_e64 s[52:53], v16, 59                         // 000000007788: D0C10034 00017710
	v_cndmask_b32_e64 v78, v78, v31, s[50:51]                  // 000000007790: D100004E 00CA3F4E
	v_cndmask_b32_e64 v79, v79, v31, s[52:53]                  // 000000007798: D100004F 00D23F4F
	s_nop 0                                                    // 0000000077A0: BF800000
	s_cmp_lt_i32 s72, s76                                      // 0000000077A4: BF044C48
	s_cbranch_scc1 label_0FAE                                  // 0000000077A8: BF850083
	s_sub_i32 s34, s7, s72                                     // 0000000077AC: 81A24807
	v_sub_i32 v16, s34, v30                                    // 0000000077B0: D29D0010 00023C22
	v_cmp_lt_i32_e64 s[50:51], 0, v16                          // 0000000077B8: D0C10032 00022080
	v_cmp_lt_i32_e64 s[52:53], 1, v16                          // 0000000077C0: D0C10034 00022081
	v_cndmask_b32_e64 v48, v31, v48, s[50:51]                  // 0000000077C8: D1000030 00CA611F
	v_cndmask_b32_e64 v49, v31, v49, s[52:53]                  // 0000000077D0: D1000031 00D2631F
	v_cmp_lt_i32_e64 s[50:51], 2, v16                          // 0000000077D8: D0C10032 00022082
	v_cmp_lt_i32_e64 s[52:53], 3, v16                          // 0000000077E0: D0C10034 00022083
	v_cndmask_b32_e64 v50, v31, v50, s[50:51]                  // 0000000077E8: D1000032 00CA651F
	v_cndmask_b32_e64 v51, v31, v51, s[52:53]                  // 0000000077F0: D1000033 00D2671F
	v_cmp_lt_i32_e64 s[50:51], 8, v16                          // 0000000077F8: D0C10032 00022088
	v_cmp_lt_i32_e64 s[52:53], 9, v16                          // 000000007800: D0C10034 00022089
	v_cndmask_b32_e64 v52, v31, v52, s[50:51]                  // 000000007808: D1000034 00CA691F
	v_cndmask_b32_e64 v53, v31, v53, s[52:53]                  // 000000007810: D1000035 00D26B1F
	v_cmp_lt_i32_e64 s[50:51], 10, v16                         // 000000007818: D0C10032 0002208A
	v_cmp_lt_i32_e64 s[52:53], 11, v16                         // 000000007820: D0C10034 0002208B
	v_cndmask_b32_e64 v54, v31, v54, s[50:51]                  // 000000007828: D1000036 00CA6D1F
	v_cndmask_b32_e64 v55, v31, v55, s[52:53]                  // 000000007830: D1000037 00D26F1F
	v_cmp_lt_i32_e64 s[50:51], 16, v16                         // 000000007838: D0C10032 00022090
	v_cmp_lt_i32_e64 s[52:53], 17, v16                         // 000000007840: D0C10034 00022091
	v_cndmask_b32_e64 v56, v31, v56, s[50:51]                  // 000000007848: D1000038 00CA711F
	v_cndmask_b32_e64 v57, v31, v57, s[52:53]                  // 000000007850: D1000039 00D2731F
	v_cmp_lt_i32_e64 s[50:51], 18, v16                         // 000000007858: D0C10032 00022092
	v_cmp_lt_i32_e64 s[52:53], 19, v16                         // 000000007860: D0C10034 00022093
	v_cndmask_b32_e64 v58, v31, v58, s[50:51]                  // 000000007868: D100003A 00CA751F
	v_cndmask_b32_e64 v59, v31, v59, s[52:53]                  // 000000007870: D100003B 00D2771F
	v_cmp_lt_i32_e64 s[50:51], 24, v16                         // 000000007878: D0C10032 00022098
	v_cmp_lt_i32_e64 s[52:53], 25, v16                         // 000000007880: D0C10034 00022099
	v_cndmask_b32_e64 v60, v31, v60, s[50:51]                  // 000000007888: D100003C 00CA791F
	v_cndmask_b32_e64 v61, v31, v61, s[52:53]                  // 000000007890: D100003D 00D27B1F
	v_cmp_lt_i32_e64 s[50:51], 26, v16                         // 000000007898: D0C10032 0002209A
	v_cmp_lt_i32_e64 s[52:53], 27, v16                         // 0000000078A0: D0C10034 0002209B
	v_cndmask_b32_e64 v62, v31, v62, s[50:51]                  // 0000000078A8: D100003E 00CA7D1F
	v_cndmask_b32_e64 v63, v31, v63, s[52:53]                  // 0000000078B0: D100003F 00D27F1F
	v_cmp_lt_i32_e64 s[50:51], 32, v16                         // 0000000078B8: D0C10032 000220A0
	v_cmp_lt_i32_e64 s[52:53], 33, v16                         // 0000000078C0: D0C10034 000220A1
	v_cndmask_b32_e64 v64, v31, v64, s[50:51]                  // 0000000078C8: D1000040 00CA811F
	v_cndmask_b32_e64 v65, v31, v65, s[52:53]                  // 0000000078D0: D1000041 00D2831F
	v_cmp_lt_i32_e64 s[50:51], 34, v16                         // 0000000078D8: D0C10032 000220A2
	v_cmp_lt_i32_e64 s[52:53], 35, v16                         // 0000000078E0: D0C10034 000220A3
	v_cndmask_b32_e64 v66, v31, v66, s[50:51]                  // 0000000078E8: D1000042 00CA851F
	v_cndmask_b32_e64 v67, v31, v67, s[52:53]                  // 0000000078F0: D1000043 00D2871F
	v_cmp_lt_i32_e64 s[50:51], 40, v16                         // 0000000078F8: D0C10032 000220A8
	v_cmp_lt_i32_e64 s[52:53], 41, v16                         // 000000007900: D0C10034 000220A9
	v_cndmask_b32_e64 v68, v31, v68, s[50:51]                  // 000000007908: D1000044 00CA891F
	v_cndmask_b32_e64 v69, v31, v69, s[52:53]                  // 000000007910: D1000045 00D28B1F
	v_cmp_lt_i32_e64 s[50:51], 42, v16                         // 000000007918: D0C10032 000220AA
	v_cmp_lt_i32_e64 s[52:53], 43, v16                         // 000000007920: D0C10034 000220AB
	v_cndmask_b32_e64 v70, v31, v70, s[50:51]                  // 000000007928: D1000046 00CA8D1F
	v_cndmask_b32_e64 v71, v31, v71, s[52:53]                  // 000000007930: D1000047 00D28F1F
	v_cmp_lt_i32_e64 s[50:51], 48, v16                         // 000000007938: D0C10032 000220B0
	v_cmp_lt_i32_e64 s[52:53], 49, v16                         // 000000007940: D0C10034 000220B1
	v_cndmask_b32_e64 v72, v31, v72, s[50:51]                  // 000000007948: D1000048 00CA911F
	v_cndmask_b32_e64 v73, v31, v73, s[52:53]                  // 000000007950: D1000049 00D2931F
	v_cmp_lt_i32_e64 s[50:51], 50, v16                         // 000000007958: D0C10032 000220B2
	v_cmp_lt_i32_e64 s[52:53], 51, v16                         // 000000007960: D0C10034 000220B3
	v_cndmask_b32_e64 v74, v31, v74, s[50:51]                  // 000000007968: D100004A 00CA951F
	v_cndmask_b32_e64 v75, v31, v75, s[52:53]                  // 000000007970: D100004B 00D2971F
	v_cmp_lt_i32_e64 s[50:51], 56, v16                         // 000000007978: D0C10032 000220B8
	v_cmp_lt_i32_e64 s[52:53], 57, v16                         // 000000007980: D0C10034 000220B9
	v_cndmask_b32_e64 v76, v31, v76, s[50:51]                  // 000000007988: D100004C 00CA991F
	v_cndmask_b32_e64 v77, v31, v77, s[52:53]                  // 000000007990: D100004D 00D29B1F
	v_cmp_lt_i32_e64 s[50:51], 58, v16                         // 000000007998: D0C10032 000220BA
	v_cmp_lt_i32_e64 s[52:53], 59, v16                         // 0000000079A0: D0C10034 000220BB
	v_cndmask_b32_e64 v78, v31, v78, s[50:51]                  // 0000000079A8: D100004E 00CA9D1F
	v_cndmask_b32_e64 v79, v31, v79, s[52:53]                  // 0000000079B0: D100004F 00D29F1F

00000000000079b8 <label_0FAE>:
	s_nop 0                                                    // 0000000079B8: BF800000
	s_mov_b32 m0, s54                                          // 0000000079BC: BEFC0036
	ds_read_b32 v192, v13 offset:17408                         // 0000000079C0: D86C4400 C000000D
	ds_read_b32 v193, v13 offset:17664                         // 0000000079C8: D86C4500 C100000D
	ds_read_b32 v194, v13 offset:17920                         // 0000000079D0: D86C4600 C200000D
	ds_read_b32 v195, v13 offset:18176                         // 0000000079D8: D86C4700 C300000D
	ds_read_b32 v196, v13 offset:18432                         // 0000000079E0: D86C4800 C400000D
	ds_read_b32 v197, v13 offset:18688                         // 0000000079E8: D86C4900 C500000D
	ds_read_b32 v198, v13 offset:18944                         // 0000000079F0: D86C4A00 C600000D
	ds_read_b32 v199, v13 offset:19200                         // 0000000079F8: D86C4B00 C700000D
	s_nop 15                                                   // 000000007A00: BF80000F
	s_nop 15                                                   // 000000007A04: BF80000F
	buffer_load_dword v4, s[12:15], s57 offen lds              // 000000007A08: E0511000 39030004
	s_add_u32 m0, 0x880, m0                                    // 000000007A10: 807C7CFF 00000880
	ds_read_b32 v200, v13 offset:17440                         // 000000007A18: D86C4420 C800000D
	ds_read_b32 v201, v13 offset:17696                         // 000000007A20: D86C4520 C900000D
	ds_read_b32 v202, v13 offset:17952                         // 000000007A28: D86C4620 CA00000D
	ds_read_b32 v203, v13 offset:18208                         // 000000007A30: D86C4720 CB00000D
	buffer_load_dword v5, s[12:15], s57 offen lds              // 000000007A38: E0511000 39030005
	s_add_u32 m0, 0x880, m0                                    // 000000007A40: 807C7CFF 00000880
	ds_read_b32 v204, v13 offset:18464                         // 000000007A48: D86C4820 CC00000D
	ds_read_b32 v205, v13 offset:18720                         // 000000007A50: D86C4920 CD00000D
	ds_read_b32 v206, v13 offset:18976                         // 000000007A58: D86C4A20 CE00000D
	ds_read_b32 v207, v13 offset:19232                         // 000000007A60: D86C4B20 CF00000D
	buffer_load_dword v6, s[12:15], s57 offen lds              // 000000007A68: E0511000 39030006
	s_add_u32 m0, 0x880, m0                                    // 000000007A70: 807C7CFF 00000880
	ds_read_b32 v208, v13 offset:17472                         // 000000007A78: D86C4440 D000000D
	ds_read_b32 v209, v13 offset:17728                         // 000000007A80: D86C4540 D100000D
	ds_read_b32 v210, v13 offset:17984                         // 000000007A88: D86C4640 D200000D
	ds_read_b32 v211, v13 offset:18240                         // 000000007A90: D86C4740 D300000D
	buffer_load_dword v7, s[12:15], s57 offen lds              // 000000007A98: E0511000 39030007
	s_add_u32 m0, 0x880, m0                                    // 000000007AA0: 807C7CFF 00000880
	ds_read_b32 v212, v13 offset:18496                         // 000000007AA8: D86C4840 D400000D
	ds_read_b32 v213, v13 offset:18752                         // 000000007AB0: D86C4940 D500000D
	ds_read_b32 v214, v13 offset:19008                         // 000000007AB8: D86C4A40 D600000D
	ds_read_b32 v215, v13 offset:19264                         // 000000007AC0: D86C4B40 D700000D
	ds_read_b32 v216, v13 offset:17504                         // 000000007AC8: D86C4460 D800000D
	ds_read_b32 v217, v13 offset:17760                         // 000000007AD0: D86C4560 D900000D
	ds_read_b32 v218, v13 offset:18016                         // 000000007AD8: D86C4660 DA00000D
	ds_read_b32 v219, v13 offset:18272                         // 000000007AE0: D86C4760 DB00000D
	ds_read_b32 v220, v13 offset:18528                         // 000000007AE8: D86C4860 DC00000D
	ds_read_b32 v221, v13 offset:18784                         // 000000007AF0: D86C4960 DD00000D
	ds_read_b32 v222, v13 offset:19040                         // 000000007AF8: D86C4A60 DE00000D
	ds_read_b32 v223, v13 offset:19296                         // 000000007B00: D86C4B60 DF00000D
	s_add_i32 s57, s64, s57                                    // 000000007B08: 81393940
	s_add_u32 s34, 0x100, s63                                  // 000000007B0C: 80223FFF 00000100
	s_cmp_lt_u32 s34, s62                                      // 000000007B14: BF0A3E22
	s_cselect_b32 s64, s64, 0                                  // 000000007B18: 85408040
	s_add_i32 s72, s72, s73                                    // 000000007B1C: 81484948
	s_addk_i32 s63, 0x40                                       // 000000007B20: B73F0040
	s_cmp_lt_i32 s63, s62                                      // 000000007B24: BF043E3F
	s_waitcnt vmcnt(8) lgkmcnt(0)                              // 000000007B28: BF8C0078
	s_barrier                                                  // 000000007B2C: BF8A0000
	v_mfma_f32_32x32x16_fp8_fp8 v[112:127], v[192:193], v[80:81], v[112:127]// 000000007B30: D3F70070 05C2A1C0
	v_max3_f32 v25, v48, v49, v28                              // 000000007B38: D1D30019 04726330
	v_max3_f32 v25, v50, v51, v25                              // 000000007B40: D1D30019 04666732
	v_max3_f32 v25, v52, v53, v25                              // 000000007B48: D1D30019 04666B34
	v_max3_f32 v25, v54, v55, v25                              // 000000007B50: D1D30019 04666F36
	v_max3_f32 v25, v56, v57, v25                              // 000000007B58: D1D30019 04667338
	v_max3_f32 v25, v58, v59, v25                              // 000000007B60: D1D30019 0466773A
	v_max3_f32 v25, v60, v61, v25                              // 000000007B68: D1D30019 04667B3C
	v_mfma_f32_32x32x16_fp8_fp8 v[112:127], v[194:195], v[82:83], v[112:127]// 000000007B70: D3F70070 05C2A5C2
	v_max3_f32 v25, v62, v63, v25                              // 000000007B78: D1D30019 04667F3E
	v_max3_f32 v25, v64, v65, v25                              // 000000007B80: D1D30019 04668340
	v_max3_f32 v25, v66, v67, v25                              // 000000007B88: D1D30019 04668742
	v_max3_f32 v25, v68, v69, v25                              // 000000007B90: D1D30019 04668B44
	v_max3_f32 v25, v70, v71, v25                              // 000000007B98: D1D30019 04668F46
	v_max3_f32 v25, v72, v73, v25                              // 000000007BA0: D1D30019 04669348
	v_max3_f32 v25, v74, v75, v25                              // 000000007BA8: D1D30019 0466974A
	v_mfma_f32_32x32x16_fp8_fp8 v[112:127], v[196:197], v[84:85], v[112:127]// 000000007BB0: D3F70070 05C2A9C4
	v_max3_f32 v25, v76, v77, v25                              // 000000007BB8: D1D30019 04669B4C
	v_max3_f32 v25, v78, v79, v25                              // 000000007BC0: D1D30019 04669F4E
	ds_permute_b32 v24, v32, v25                               // 000000007BC8: D87C0000 18001920
	v_mfma_f32_32x32x16_fp8_fp8 v[112:127], v[198:199], v[86:87], v[112:127]// 000000007BD0: D3F70070 05C2ADC6
	v_nop                                                      // 000000007BD8: 7E000000
	s_nop 0                                                    // 000000007BDC: BF800000
	v_mfma_f32_32x32x16_fp8_fp8 v[128:143], v[200:201], v[80:81], v[128:143]// 000000007BE0: D3F70080 0602A1C8
	v_nop                                                      // 000000007BE8: 7E000000
	v_mfma_f32_32x32x16_fp8_fp8 v[128:143], v[202:203], v[82:83], v[128:143]// 000000007BEC: D3F70080 0602A5CA
	s_waitcnt lgkmcnt(0)                                       // 000000007BF4: BF8CC07F
	v_max_f32_e32 v25, v24, v25                                // 000000007BF8: 16323318
	v_sub_f32_e32 v20, v28, v25                                // 000000007BFC: 0428331C
	v_mov_b32_e32 v28, v25                                     // 000000007C00: 7E380319
	v_mul_f32_e32 v27, s74, v25                                // 000000007C04: 0A36324A
	v_mul_f32_e32 v20, s74, v20                                // 000000007C08: 0A28284A
	v_mfma_f32_32x32x16_fp8_fp8 v[128:143], v[204:205], v[84:85], v[128:143]// 000000007C0C: D3F70080 0602A9CC
	v_exp_f32_e32 v20, v20                                     // 000000007C14: 7E284114
	v_fma_f32 v48, v48, s74, -v27                              // 000000007C18: D1CB0030 846C9530
	v_fma_f32 v49, v49, s74, -v27                              // 000000007C20: D1CB0031 846C9531
	v_fma_f32 v50, v50, s74, -v27                              // 000000007C28: D1CB0032 846C9532
	v_mfma_f32_32x32x16_fp8_fp8 v[128:143], v[206:207], v[86:87], v[128:143]// 000000007C30: D3F70080 0602ADCE
	v_fma_f32 v51, v51, s74, -v27                              // 000000007C38: D1CB0033 846C9533
	v_fma_f32 v52, v52, s74, -v27                              // 000000007C40: D1CB0034 846C9534
	v_fma_f32 v53, v53, s74, -v27                              // 000000007C48: D1CB0035 846C9535
	v_fma_f32 v54, v54, s74, -v27                              // 000000007C50: D1CB0036 846C9536
	v_fma_f32 v55, v55, s74, -v27                              // 000000007C58: D1CB0037 846C9537
	v_fma_f32 v56, v56, s74, -v27                              // 000000007C60: D1CB0038 846C9538
	v_fma_f32 v57, v57, s74, -v27                              // 000000007C68: D1CB0039 846C9539
	v_mfma_f32_32x32x16_fp8_fp8 v[144:159], v[208:209], v[80:81], v[144:159]// 000000007C70: D3F70090 0642A1D0
	v_fma_f32 v58, v58, s74, -v27                              // 000000007C78: D1CB003A 846C953A
	v_fma_f32 v59, v59, s74, -v27                              // 000000007C80: D1CB003B 846C953B
	v_fma_f32 v60, v60, s74, -v27                              // 000000007C88: D1CB003C 846C953C
	v_fma_f32 v61, v61, s74, -v27                              // 000000007C90: D1CB003D 846C953D
	v_fma_f32 v62, v62, s74, -v27                              // 000000007C98: D1CB003E 846C953E
	v_fma_f32 v63, v63, s74, -v27                              // 000000007CA0: D1CB003F 846C953F
	v_fma_f32 v64, v64, s74, -v27                              // 000000007CA8: D1CB0040 846C9540
	v_mfma_f32_32x32x16_fp8_fp8 v[144:159], v[210:211], v[82:83], v[144:159]// 000000007CB0: D3F70090 0642A5D2
	v_fma_f32 v65, v65, s74, -v27                              // 000000007CB8: D1CB0041 846C9541
	v_fma_f32 v66, v66, s74, -v27                              // 000000007CC0: D1CB0042 846C9542
	v_fma_f32 v67, v67, s74, -v27                              // 000000007CC8: D1CB0043 846C9543
	v_fma_f32 v68, v68, s74, -v27                              // 000000007CD0: D1CB0044 846C9544
	v_fma_f32 v69, v69, s74, -v27                              // 000000007CD8: D1CB0045 846C9545
	v_fma_f32 v70, v70, s74, -v27                              // 000000007CE0: D1CB0046 846C9546
	v_fma_f32 v71, v71, s74, -v27                              // 000000007CE8: D1CB0047 846C9547
	v_mfma_f32_32x32x16_fp8_fp8 v[144:159], v[212:213], v[84:85], v[144:159]// 000000007CF0: D3F70090 0642A9D4
	v_fma_f32 v72, v72, s74, -v27                              // 000000007CF8: D1CB0048 846C9548
	v_fma_f32 v73, v73, s74, -v27                              // 000000007D00: D1CB0049 846C9549
	v_fma_f32 v74, v74, s74, -v27                              // 000000007D08: D1CB004A 846C954A
	v_fma_f32 v75, v75, s74, -v27                              // 000000007D10: D1CB004B 846C954B
	v_fma_f32 v76, v76, s74, -v27                              // 000000007D18: D1CB004C 846C954C
	v_fma_f32 v77, v77, s74, -v27                              // 000000007D20: D1CB004D 846C954D
	v_fma_f32 v78, v78, s74, -v27                              // 000000007D28: D1CB004E 846C954E
	v_mfma_f32_32x32x16_fp8_fp8 v[144:159], v[214:215], v[86:87], v[144:159]// 000000007D30: D3F70090 0642ADD6
	v_fma_f32 v79, v79, s74, -v27                              // 000000007D38: D1CB004F 846C954F
	v_exp_f32_e32 v48, v48                                     // 000000007D40: 7E604130
	v_exp_f32_e32 v49, v49                                     // 000000007D44: 7E624131
	v_mfma_f32_32x32x16_fp8_fp8 v[160:175], v[216:217], v[80:81], v[160:175]// 000000007D48: D3F700A0 0682A1D8
	v_exp_f32_e32 v50, v50                                     // 000000007D50: 7E644132
	v_exp_f32_e32 v51, v51                                     // 000000007D54: 7E664133
	v_mfma_f32_32x32x16_fp8_fp8 v[160:175], v[218:219], v[82:83], v[160:175]// 000000007D58: D3F700A0 0682A5DA
	v_exp_f32_e32 v52, v52                                     // 000000007D60: 7E684134
	v_exp_f32_e32 v53, v53                                     // 000000007D64: 7E6A4135
	v_mfma_f32_32x32x16_fp8_fp8 v[160:175], v[220:221], v[84:85], v[160:175]// 000000007D68: D3F700A0 0682A9DC
	v_exp_f32_e32 v54, v54                                     // 000000007D70: 7E6C4136
	v_exp_f32_e32 v55, v55                                     // 000000007D74: 7E6E4137
	v_mfma_f32_32x32x16_fp8_fp8 v[160:175], v[222:223], v[86:87], v[160:175]// 000000007D78: D3F700A0 0682ADDE
	s_cbranch_scc0 label_10A2                                  // 000000007D80: BF840001
	s_branch label_0AAD                                        // 000000007D84: BF82FA0B

0000000000007d88 <label_10A2>:
	s_add_u32 s34, s62, 63                                     // 000000007D88: 8022BF3E
	s_lshr_b32 s34, s34, 6                                     // 000000007D8C: 8F228622
	s_and_b32 s34, 1, s34                                      // 000000007D90: 86222281
	s_cmp_lt_i32 s34, 1                                        // 000000007D94: BF048122
	s_cbranch_scc0 label_11C1                                  // 000000007D98: BF84011A
	s_waitcnt vmcnt(4)                                         // 000000007D9C: BF8C0F74
	s_barrier                                                  // 000000007DA0: BF8A0000
	s_nop 0                                                    // 000000007DA4: BF800000
	v_perm_b32 v16, v229, v228, s69                            // 000000007DA8: D1ED0010 0117C9E5
	v_perm_b32 v17, v229, v228, s70                            // 000000007DB0: D1ED0011 011BC9E5
	v_perm_b32 v18, v231, v230, s69                            // 000000007DB8: D1ED0012 0117CDE7
	v_perm_b32 v19, v231, v230, s70                            // 000000007DC0: D1ED0013 011BCDE7
	v_perm_b32 v232, v18, v16, s68                             // 000000007DC8: D1ED00E8 01122112
	v_perm_b32 v233, v18, v16, s67                             // 000000007DD0: D1ED00E9 010E2112
	v_perm_b32 v234, v19, v17, s68                             // 000000007DD8: D1ED00EA 01122313
	v_perm_b32 v235, v19, v17, s67                             // 000000007DE0: D1ED00EB 010E2313
	ds_write_b32 v14, v232 offset:17408                        // 000000007DE8: D81A4400 0000E80E
	ds_write_b32 v14, v233 offset:19488                        // 000000007DF0: D81A4C20 0000E90E
	ds_write_b32 v14, v234 offset:21568                        // 000000007DF8: D81A5440 0000EA0E
	ds_write_b32 v14, v235 offset:23648                        // 000000007E00: D81A5C60 0000EB0E
	s_waitcnt lgkmcnt(0)                                       // 000000007E08: BF8CC07F
	s_barrier                                                  // 000000007E0C: BF8A0000
	ds_read_b32 v192, v13 offset:17408                         // 000000007E10: D86C4400 C000000D
	ds_read_b32 v193, v13 offset:17664                         // 000000007E18: D86C4500 C100000D
	ds_read_b32 v194, v13 offset:17920                         // 000000007E20: D86C4600 C200000D
	ds_read_b32 v195, v13 offset:18176                         // 000000007E28: D86C4700 C300000D
	ds_read_b32 v196, v13 offset:18432                         // 000000007E30: D86C4800 C400000D
	ds_read_b32 v197, v13 offset:18688                         // 000000007E38: D86C4900 C500000D
	ds_read_b32 v198, v13 offset:18944                         // 000000007E40: D86C4A00 C600000D
	ds_read_b32 v199, v13 offset:19200                         // 000000007E48: D86C4B00 C700000D
	ds_read_b32 v200, v13 offset:17440                         // 000000007E50: D86C4420 C800000D
	ds_read_b32 v201, v13 offset:17696                         // 000000007E58: D86C4520 C900000D
	ds_read_b32 v202, v13 offset:17952                         // 000000007E60: D86C4620 CA00000D
	ds_read_b32 v203, v13 offset:18208                         // 000000007E68: D86C4720 CB00000D
	ds_read_b32 v204, v13 offset:18464                         // 000000007E70: D86C4820 CC00000D
	ds_read_b32 v205, v13 offset:18720                         // 000000007E78: D86C4920 CD00000D
	ds_read_b32 v206, v13 offset:18976                         // 000000007E80: D86C4A20 CE00000D
	ds_read_b32 v207, v13 offset:19232                         // 000000007E88: D86C4B20 CF00000D
	ds_read_b32 v208, v13 offset:17472                         // 000000007E90: D86C4440 D000000D
	ds_read_b32 v209, v13 offset:17728                         // 000000007E98: D86C4540 D100000D
	ds_read_b32 v210, v13 offset:17984                         // 000000007EA0: D86C4640 D200000D
	ds_read_b32 v211, v13 offset:18240                         // 000000007EA8: D86C4740 D300000D
	ds_read_b32 v212, v13 offset:18496                         // 000000007EB0: D86C4840 D400000D
	ds_read_b32 v213, v13 offset:18752                         // 000000007EB8: D86C4940 D500000D
	ds_read_b32 v214, v13 offset:19008                         // 000000007EC0: D86C4A40 D600000D
	ds_read_b32 v215, v13 offset:19264                         // 000000007EC8: D86C4B40 D700000D
	ds_read_b32 v216, v13 offset:17504                         // 000000007ED0: D86C4460 D800000D
	ds_read_b32 v217, v13 offset:17760                         // 000000007ED8: D86C4560 D900000D
	ds_read_b32 v218, v13 offset:18016                         // 000000007EE0: D86C4660 DA00000D
	ds_read_b32 v219, v13 offset:18272                         // 000000007EE8: D86C4760 DB00000D
	ds_read_b32 v220, v13 offset:18528                         // 000000007EF0: D86C4860 DC00000D
	ds_read_b32 v221, v13 offset:18784                         // 000000007EF8: D86C4960 DD00000D
	ds_read_b32 v222, v13 offset:19040                         // 000000007F00: D86C4A60 DE00000D
	ds_read_b32 v223, v13 offset:19296                         // 000000007F08: D86C4B60 DF00000D
	v_exp_f32_e32 v88, v88                                     // 000000007F10: 7EB04158
	v_exp_f32_e32 v89, v89                                     // 000000007F14: 7EB24159
	v_exp_f32_e32 v90, v90                                     // 000000007F18: 7EB4415A
	v_exp_f32_e32 v91, v91                                     // 000000007F1C: 7EB6415B
	v_exp_f32_e32 v92, v92                                     // 000000007F20: 7EB8415C
	v_exp_f32_e32 v93, v93                                     // 000000007F24: 7EBA415D
	v_exp_f32_e32 v94, v94                                     // 000000007F28: 7EBC415E
	v_exp_f32_e32 v95, v95                                     // 000000007F2C: 7EBE415F
	v_exp_f32_e32 v96, v96                                     // 000000007F30: 7EC04160
	v_exp_f32_e32 v97, v97                                     // 000000007F34: 7EC24161
	v_exp_f32_e32 v98, v98                                     // 000000007F38: 7EC44162
	v_exp_f32_e32 v99, v99                                     // 000000007F3C: 7EC64163
	v_exp_f32_e32 v100, v100                                   // 000000007F40: 7EC84164
	v_exp_f32_e32 v101, v101                                   // 000000007F44: 7ECA4165
	v_exp_f32_e32 v102, v102                                   // 000000007F48: 7ECC4166
	v_exp_f32_e32 v103, v103                                   // 000000007F4C: 7ECE4167
	v_exp_f32_e32 v104, v104                                   // 000000007F50: 7ED04168
	v_exp_f32_e32 v105, v105                                   // 000000007F54: 7ED24169
	v_exp_f32_e32 v106, v106                                   // 000000007F58: 7ED4416A
	v_exp_f32_e32 v107, v107                                   // 000000007F5C: 7ED6416B
	v_exp_f32_e32 v108, v108                                   // 000000007F60: 7ED8416C
	v_exp_f32_e32 v109, v109                                   // 000000007F64: 7EDA416D
	v_exp_f32_e32 v110, v110                                   // 000000007F68: 7EDC416E
	v_exp_f32_e32 v111, v111                                   // 000000007F6C: 7EDE416F
	v_mul_f32_e32 v22, v20, v22                                // 000000007F70: 0A2C2D14
	v_add_f32_e32 v38, v81, v80                                // 000000007F74: 024CA151
	v_add_f32_e32 v38, v82, v38                                // 000000007F78: 024C4D52
	v_add_f32_e32 v38, v83, v38                                // 000000007F7C: 024C4D53
	v_add_f32_e32 v38, v84, v38                                // 000000007F80: 024C4D54
	v_add_f32_e32 v38, v85, v38                                // 000000007F84: 024C4D55
	v_add_f32_e32 v38, v86, v38                                // 000000007F88: 024C4D56
	v_add_f32_e32 v38, v87, v38                                // 000000007F8C: 024C4D57
	v_add_f32_e32 v38, v88, v38                                // 000000007F90: 024C4D58
	v_add_f32_e32 v38, v89, v38                                // 000000007F94: 024C4D59
	v_add_f32_e32 v38, v90, v38                                // 000000007F98: 024C4D5A
	v_add_f32_e32 v38, v91, v38                                // 000000007F9C: 024C4D5B
	v_add_f32_e32 v38, v92, v38                                // 000000007FA0: 024C4D5C
	v_add_f32_e32 v38, v93, v38                                // 000000007FA4: 024C4D5D
	v_add_f32_e32 v38, v94, v38                                // 000000007FA8: 024C4D5E
	v_add_f32_e32 v38, v95, v38                                // 000000007FAC: 024C4D5F
	v_add_f32_e32 v38, v96, v38                                // 000000007FB0: 024C4D60
	v_add_f32_e32 v38, v97, v38                                // 000000007FB4: 024C4D61
	v_add_f32_e32 v38, v98, v38                                // 000000007FB8: 024C4D62
	v_add_f32_e32 v38, v99, v38                                // 000000007FBC: 024C4D63
	v_add_f32_e32 v38, v100, v38                               // 000000007FC0: 024C4D64
	v_add_f32_e32 v38, v101, v38                               // 000000007FC4: 024C4D65
	v_add_f32_e32 v38, v102, v38                               // 000000007FC8: 024C4D66
	v_add_f32_e32 v38, v103, v38                               // 000000007FCC: 024C4D67
	v_add_f32_e32 v38, v104, v38                               // 000000007FD0: 024C4D68
	v_add_f32_e32 v38, v105, v38                               // 000000007FD4: 024C4D69
	v_add_f32_e32 v38, v106, v38                               // 000000007FD8: 024C4D6A
	v_add_f32_e32 v38, v107, v38                               // 000000007FDC: 024C4D6B
	v_add_f32_e32 v38, v108, v38                               // 000000007FE0: 024C4D6C
	v_add_f32_e32 v38, v109, v38                               // 000000007FE4: 024C4D6D
	v_add_f32_e32 v38, v110, v38                               // 000000007FE8: 024C4D6E
	v_add_f32_e32 v38, v111, v38                               // 000000007FEC: 024C4D6F
	v_add_f32_e32 v22, v38, v22                                // 000000007FF0: 022C2D26
	v_cvt_pk_fp8_f32 v80, v80, v81                             // 000000007FF4: D2A20050 0002A350
	v_cvt_pk_fp8_f32 v80, v82, v83 op_sel:[0,0,1]              // 000000007FFC: D2A24050 0002A752
	v_cvt_pk_fp8_f32 v81, v84, v85                             // 000000008004: D2A20051 0002AB54
	v_cvt_pk_fp8_f32 v81, v86, v87 op_sel:[0,0,1]              // 00000000800C: D2A24051 0002AF56
	v_cvt_pk_fp8_f32 v82, v88, v89                             // 000000008014: D2A20052 0002B358
	v_cvt_pk_fp8_f32 v82, v90, v91 op_sel:[0,0,1]              // 00000000801C: D2A24052 0002B75A
	v_cvt_pk_fp8_f32 v83, v92, v93                             // 000000008024: D2A20053 0002BB5C
	v_cvt_pk_fp8_f32 v83, v94, v95 op_sel:[0,0,1]              // 00000000802C: D2A24053 0002BF5E
	v_cvt_pk_fp8_f32 v84, v96, v97                             // 000000008034: D2A20054 0002C360
	v_cvt_pk_fp8_f32 v84, v98, v99 op_sel:[0,0,1]              // 00000000803C: D2A24054 0002C762
	v_cvt_pk_fp8_f32 v85, v100, v101                           // 000000008044: D2A20055 0002CB64
	v_cvt_pk_fp8_f32 v85, v102, v103 op_sel:[0,0,1]            // 00000000804C: D2A24055 0002CF66
	v_cvt_pk_fp8_f32 v86, v104, v105                           // 000000008054: D2A20056 0002D368
	v_cvt_pk_fp8_f32 v86, v106, v107 op_sel:[0,0,1]            // 00000000805C: D2A24056 0002D76A
	v_cvt_pk_fp8_f32 v87, v108, v109                           // 000000008064: D2A20057 0002DB6C
	v_cvt_pk_fp8_f32 v87, v110, v111 op_sel:[0,0,1]            // 00000000806C: D2A24057 0002DF6E
	v_mov_b32_e32 v21, v20                                     // 000000008074: 7E2A0314
	v_mul_f32_e32 v112, v20, v112                              // 000000008078: 0AE0E114
	v_mul_f32_e32 v113, v20, v113                              // 00000000807C: 0AE2E314
	v_pk_mul_f32 v[114:115], v[20:21], v[114:115]              // 000000008080: D3B14072 1802E514
	v_pk_mul_f32 v[116:117], v[20:21], v[116:117]              // 000000008088: D3B14074 1802E914
	v_pk_mul_f32 v[118:119], v[20:21], v[118:119]              // 000000008090: D3B14076 1802ED14
	v_pk_mul_f32 v[120:121], v[20:21], v[120:121]              // 000000008098: D3B14078 1802F114
	v_pk_mul_f32 v[122:123], v[20:21], v[122:123]              // 0000000080A0: D3B1407A 1802F514
	v_pk_mul_f32 v[124:125], v[20:21], v[124:125]              // 0000000080A8: D3B1407C 1802F914
	v_pk_mul_f32 v[126:127], v[20:21], v[126:127]              // 0000000080B0: D3B1407E 1802FD14
	v_pk_mul_f32 v[128:129], v[20:21], v[128:129]              // 0000000080B8: D3B14080 18030114
	v_pk_mul_f32 v[130:131], v[20:21], v[130:131]              // 0000000080C0: D3B14082 18030514
	v_pk_mul_f32 v[132:133], v[20:21], v[132:133]              // 0000000080C8: D3B14084 18030914
	v_pk_mul_f32 v[134:135], v[20:21], v[134:135]              // 0000000080D0: D3B14086 18030D14
	v_pk_mul_f32 v[136:137], v[20:21], v[136:137]              // 0000000080D8: D3B14088 18031114
	v_pk_mul_f32 v[138:139], v[20:21], v[138:139]              // 0000000080E0: D3B1408A 18031514
	v_pk_mul_f32 v[140:141], v[20:21], v[140:141]              // 0000000080E8: D3B1408C 18031914
	v_pk_mul_f32 v[142:143], v[20:21], v[142:143]              // 0000000080F0: D3B1408E 18031D14
	v_pk_mul_f32 v[144:145], v[20:21], v[144:145]              // 0000000080F8: D3B14090 18032114
	v_pk_mul_f32 v[146:147], v[20:21], v[146:147]              // 000000008100: D3B14092 18032514
	v_pk_mul_f32 v[148:149], v[20:21], v[148:149]              // 000000008108: D3B14094 18032914
	v_pk_mul_f32 v[150:151], v[20:21], v[150:151]              // 000000008110: D3B14096 18032D14
	v_pk_mul_f32 v[152:153], v[20:21], v[152:153]              // 000000008118: D3B14098 18033114
	v_pk_mul_f32 v[154:155], v[20:21], v[154:155]              // 000000008120: D3B1409A 18033514
	v_pk_mul_f32 v[156:157], v[20:21], v[156:157]              // 000000008128: D3B1409C 18033914
	v_pk_mul_f32 v[158:159], v[20:21], v[158:159]              // 000000008130: D3B1409E 18033D14
	v_pk_mul_f32 v[160:161], v[20:21], v[160:161]              // 000000008138: D3B140A0 18034114
	v_pk_mul_f32 v[162:163], v[20:21], v[162:163]              // 000000008140: D3B140A2 18034514
	v_pk_mul_f32 v[164:165], v[20:21], v[164:165]              // 000000008148: D3B140A4 18034914
	v_pk_mul_f32 v[166:167], v[20:21], v[166:167]              // 000000008150: D3B140A6 18034D14
	v_pk_mul_f32 v[168:169], v[20:21], v[168:169]              // 000000008158: D3B140A8 18035114
	v_pk_mul_f32 v[170:171], v[20:21], v[170:171]              // 000000008160: D3B140AA 18035514
	v_pk_mul_f32 v[172:173], v[20:21], v[172:173]              // 000000008168: D3B140AC 18035914
	v_pk_mul_f32 v[174:175], v[20:21], v[174:175]              // 000000008170: D3B140AE 18035D14
	s_waitcnt lgkmcnt(0)                                       // 000000008178: BF8CC07F
	s_nop 0                                                    // 00000000817C: BF800000
	v_mfma_f32_32x32x16_fp8_fp8 v[112:127], v[192:193], v[80:81], v[112:127]// 000000008180: D3F70070 05C2A1C0
	v_mfma_f32_32x32x16_fp8_fp8 v[112:127], v[194:195], v[82:83], v[112:127]// 000000008188: D3F70070 05C2A5C2
	v_mfma_f32_32x32x16_fp8_fp8 v[112:127], v[196:197], v[84:85], v[112:127]// 000000008190: D3F70070 05C2A9C4
	v_mfma_f32_32x32x16_fp8_fp8 v[112:127], v[198:199], v[86:87], v[112:127]// 000000008198: D3F70070 05C2ADC6
	v_mfma_f32_32x32x16_fp8_fp8 v[128:143], v[200:201], v[80:81], v[128:143]// 0000000081A0: D3F70080 0602A1C8
	v_mfma_f32_32x32x16_fp8_fp8 v[128:143], v[202:203], v[82:83], v[128:143]// 0000000081A8: D3F70080 0602A5CA
	v_mfma_f32_32x32x16_fp8_fp8 v[128:143], v[204:205], v[84:85], v[128:143]// 0000000081B0: D3F70080 0602A9CC
	v_mfma_f32_32x32x16_fp8_fp8 v[128:143], v[206:207], v[86:87], v[128:143]// 0000000081B8: D3F70080 0602ADCE
	v_mfma_f32_32x32x16_fp8_fp8 v[144:159], v[208:209], v[80:81], v[144:159]// 0000000081C0: D3F70090 0642A1D0
	v_mfma_f32_32x32x16_fp8_fp8 v[144:159], v[210:211], v[82:83], v[144:159]// 0000000081C8: D3F70090 0642A5D2
	v_mfma_f32_32x32x16_fp8_fp8 v[144:159], v[212:213], v[84:85], v[144:159]// 0000000081D0: D3F70090 0642A9D4
	v_mfma_f32_32x32x16_fp8_fp8 v[144:159], v[214:215], v[86:87], v[144:159]// 0000000081D8: D3F70090 0642ADD6
	v_mfma_f32_32x32x16_fp8_fp8 v[160:175], v[216:217], v[80:81], v[160:175]// 0000000081E0: D3F700A0 0682A1D8
	v_mfma_f32_32x32x16_fp8_fp8 v[160:175], v[218:219], v[82:83], v[160:175]// 0000000081E8: D3F700A0 0682A5DA
	v_mfma_f32_32x32x16_fp8_fp8 v[160:175], v[220:221], v[84:85], v[160:175]// 0000000081F0: D3F700A0 0682A9DC
	v_mfma_f32_32x32x16_fp8_fp8 v[160:175], v[222:223], v[86:87], v[160:175]// 0000000081F8: D3F700A0 0682ADDE
	s_branch label_12DA                                        // 000000008200: BF820119

0000000000008204 <label_11C1>:
	s_waitcnt vmcnt(4)                                         // 000000008204: BF8C0F74
	s_barrier                                                  // 000000008208: BF8A0000
	s_nop 0                                                    // 00000000820C: BF800000
	v_perm_b32 v16, v225, v224, s69                            // 000000008210: D1ED0010 0117C1E1
	v_perm_b32 v17, v225, v224, s70                            // 000000008218: D1ED0011 011BC1E1
	v_perm_b32 v18, v227, v226, s69                            // 000000008220: D1ED0012 0117C5E3
	v_perm_b32 v19, v227, v226, s70                            // 000000008228: D1ED0013 011BC5E3
	v_perm_b32 v232, v18, v16, s68                             // 000000008230: D1ED00E8 01122112
	v_perm_b32 v233, v18, v16, s67                             // 000000008238: D1ED00E9 010E2112
	v_perm_b32 v234, v19, v17, s68                             // 000000008240: D1ED00EA 01122313
	v_perm_b32 v235, v19, v17, s67                             // 000000008248: D1ED00EB 010E2313
	ds_write_b32 v14, v232 offset:17408                        // 000000008250: D81A4400 0000E80E
	ds_write_b32 v14, v233 offset:19488                        // 000000008258: D81A4C20 0000E90E
	ds_write_b32 v14, v234 offset:21568                        // 000000008260: D81A5440 0000EA0E
	ds_write_b32 v14, v235 offset:23648                        // 000000008268: D81A5C60 0000EB0E
	s_waitcnt lgkmcnt(0)                                       // 000000008270: BF8CC07F
	s_barrier                                                  // 000000008274: BF8A0000
	ds_read_b32 v192, v13 offset:17408                         // 000000008278: D86C4400 C000000D
	ds_read_b32 v193, v13 offset:17664                         // 000000008280: D86C4500 C100000D
	ds_read_b32 v194, v13 offset:17920                         // 000000008288: D86C4600 C200000D
	ds_read_b32 v195, v13 offset:18176                         // 000000008290: D86C4700 C300000D
	ds_read_b32 v196, v13 offset:18432                         // 000000008298: D86C4800 C400000D
	ds_read_b32 v197, v13 offset:18688                         // 0000000082A0: D86C4900 C500000D
	ds_read_b32 v198, v13 offset:18944                         // 0000000082A8: D86C4A00 C600000D
	ds_read_b32 v199, v13 offset:19200                         // 0000000082B0: D86C4B00 C700000D
	ds_read_b32 v200, v13 offset:17440                         // 0000000082B8: D86C4420 C800000D
	ds_read_b32 v201, v13 offset:17696                         // 0000000082C0: D86C4520 C900000D
	ds_read_b32 v202, v13 offset:17952                         // 0000000082C8: D86C4620 CA00000D
	ds_read_b32 v203, v13 offset:18208                         // 0000000082D0: D86C4720 CB00000D
	ds_read_b32 v204, v13 offset:18464                         // 0000000082D8: D86C4820 CC00000D
	ds_read_b32 v205, v13 offset:18720                         // 0000000082E0: D86C4920 CD00000D
	ds_read_b32 v206, v13 offset:18976                         // 0000000082E8: D86C4A20 CE00000D
	ds_read_b32 v207, v13 offset:19232                         // 0000000082F0: D86C4B20 CF00000D
	ds_read_b32 v208, v13 offset:17472                         // 0000000082F8: D86C4440 D000000D
	ds_read_b32 v209, v13 offset:17728                         // 000000008300: D86C4540 D100000D
	ds_read_b32 v210, v13 offset:17984                         // 000000008308: D86C4640 D200000D
	ds_read_b32 v211, v13 offset:18240                         // 000000008310: D86C4740 D300000D
	ds_read_b32 v212, v13 offset:18496                         // 000000008318: D86C4840 D400000D
	ds_read_b32 v213, v13 offset:18752                         // 000000008320: D86C4940 D500000D
	ds_read_b32 v214, v13 offset:19008                         // 000000008328: D86C4A40 D600000D
	ds_read_b32 v215, v13 offset:19264                         // 000000008330: D86C4B40 D700000D
	ds_read_b32 v216, v13 offset:17504                         // 000000008338: D86C4460 D800000D
	ds_read_b32 v217, v13 offset:17760                         // 000000008340: D86C4560 D900000D
	ds_read_b32 v218, v13 offset:18016                         // 000000008348: D86C4660 DA00000D
	ds_read_b32 v219, v13 offset:18272                         // 000000008350: D86C4760 DB00000D
	ds_read_b32 v220, v13 offset:18528                         // 000000008358: D86C4860 DC00000D
	ds_read_b32 v221, v13 offset:18784                         // 000000008360: D86C4960 DD00000D
	ds_read_b32 v222, v13 offset:19040                         // 000000008368: D86C4A60 DE00000D
	ds_read_b32 v223, v13 offset:19296                         // 000000008370: D86C4B60 DF00000D
	v_exp_f32_e32 v56, v56                                     // 000000008378: 7E704138
	v_exp_f32_e32 v57, v57                                     // 00000000837C: 7E724139
	v_exp_f32_e32 v58, v58                                     // 000000008380: 7E74413A
	v_exp_f32_e32 v59, v59                                     // 000000008384: 7E76413B
	v_exp_f32_e32 v60, v60                                     // 000000008388: 7E78413C
	v_exp_f32_e32 v61, v61                                     // 00000000838C: 7E7A413D
	v_exp_f32_e32 v62, v62                                     // 000000008390: 7E7C413E
	v_exp_f32_e32 v63, v63                                     // 000000008394: 7E7E413F
	v_exp_f32_e32 v64, v64                                     // 000000008398: 7E804140
	v_exp_f32_e32 v65, v65                                     // 00000000839C: 7E824141
	v_exp_f32_e32 v66, v66                                     // 0000000083A0: 7E844142
	v_exp_f32_e32 v67, v67                                     // 0000000083A4: 7E864143
	v_exp_f32_e32 v68, v68                                     // 0000000083A8: 7E884144
	v_exp_f32_e32 v69, v69                                     // 0000000083AC: 7E8A4145
	v_exp_f32_e32 v70, v70                                     // 0000000083B0: 7E8C4146
	v_exp_f32_e32 v71, v71                                     // 0000000083B4: 7E8E4147
	v_exp_f32_e32 v72, v72                                     // 0000000083B8: 7E904148
	v_exp_f32_e32 v73, v73                                     // 0000000083BC: 7E924149
	v_exp_f32_e32 v74, v74                                     // 0000000083C0: 7E94414A
	v_exp_f32_e32 v75, v75                                     // 0000000083C4: 7E96414B
	v_exp_f32_e32 v76, v76                                     // 0000000083C8: 7E98414C
	v_exp_f32_e32 v77, v77                                     // 0000000083CC: 7E9A414D
	v_exp_f32_e32 v78, v78                                     // 0000000083D0: 7E9C414E
	v_exp_f32_e32 v79, v79                                     // 0000000083D4: 7E9E414F
	v_mul_f32_e32 v22, v20, v22                                // 0000000083D8: 0A2C2D14
	v_add_f32_e32 v38, v49, v48                                // 0000000083DC: 024C6131
	v_add_f32_e32 v38, v50, v38                                // 0000000083E0: 024C4D32
	v_add_f32_e32 v38, v51, v38                                // 0000000083E4: 024C4D33
	v_add_f32_e32 v38, v52, v38                                // 0000000083E8: 024C4D34
	v_add_f32_e32 v38, v53, v38                                // 0000000083EC: 024C4D35
	v_add_f32_e32 v38, v54, v38                                // 0000000083F0: 024C4D36
	v_add_f32_e32 v38, v55, v38                                // 0000000083F4: 024C4D37
	v_add_f32_e32 v38, v56, v38                                // 0000000083F8: 024C4D38
	v_add_f32_e32 v38, v57, v38                                // 0000000083FC: 024C4D39
	v_add_f32_e32 v38, v58, v38                                // 000000008400: 024C4D3A
	v_add_f32_e32 v38, v59, v38                                // 000000008404: 024C4D3B
	v_add_f32_e32 v38, v60, v38                                // 000000008408: 024C4D3C
	v_add_f32_e32 v38, v61, v38                                // 00000000840C: 024C4D3D
	v_add_f32_e32 v38, v62, v38                                // 000000008410: 024C4D3E
	v_add_f32_e32 v38, v63, v38                                // 000000008414: 024C4D3F
	v_add_f32_e32 v38, v64, v38                                // 000000008418: 024C4D40
	v_add_f32_e32 v38, v65, v38                                // 00000000841C: 024C4D41
	v_add_f32_e32 v38, v66, v38                                // 000000008420: 024C4D42
	v_add_f32_e32 v38, v67, v38                                // 000000008424: 024C4D43
	v_add_f32_e32 v38, v68, v38                                // 000000008428: 024C4D44
	v_add_f32_e32 v38, v69, v38                                // 00000000842C: 024C4D45
	v_add_f32_e32 v38, v70, v38                                // 000000008430: 024C4D46
	v_add_f32_e32 v38, v71, v38                                // 000000008434: 024C4D47
	v_add_f32_e32 v38, v72, v38                                // 000000008438: 024C4D48
	v_add_f32_e32 v38, v73, v38                                // 00000000843C: 024C4D49
	v_add_f32_e32 v38, v74, v38                                // 000000008440: 024C4D4A
	v_add_f32_e32 v38, v75, v38                                // 000000008444: 024C4D4B
	v_add_f32_e32 v38, v76, v38                                // 000000008448: 024C4D4C
	v_add_f32_e32 v38, v77, v38                                // 00000000844C: 024C4D4D
	v_add_f32_e32 v38, v78, v38                                // 000000008450: 024C4D4E
	v_add_f32_e32 v38, v79, v38                                // 000000008454: 024C4D4F
	v_add_f32_e32 v22, v38, v22                                // 000000008458: 022C2D26
	v_cvt_pk_fp8_f32 v48, v48, v49                             // 00000000845C: D2A20030 00026330
	v_cvt_pk_fp8_f32 v48, v50, v51 op_sel:[0,0,1]              // 000000008464: D2A24030 00026732
	v_cvt_pk_fp8_f32 v49, v52, v53                             // 00000000846C: D2A20031 00026B34
	v_cvt_pk_fp8_f32 v49, v54, v55 op_sel:[0,0,1]              // 000000008474: D2A24031 00026F36
	v_cvt_pk_fp8_f32 v50, v56, v57                             // 00000000847C: D2A20032 00027338
	v_cvt_pk_fp8_f32 v50, v58, v59 op_sel:[0,0,1]              // 000000008484: D2A24032 0002773A
	v_cvt_pk_fp8_f32 v51, v60, v61                             // 00000000848C: D2A20033 00027B3C
	v_cvt_pk_fp8_f32 v51, v62, v63 op_sel:[0,0,1]              // 000000008494: D2A24033 00027F3E
	v_cvt_pk_fp8_f32 v52, v64, v65                             // 00000000849C: D2A20034 00028340
	v_cvt_pk_fp8_f32 v52, v66, v67 op_sel:[0,0,1]              // 0000000084A4: D2A24034 00028742
	v_cvt_pk_fp8_f32 v53, v68, v69                             // 0000000084AC: D2A20035 00028B44
	v_cvt_pk_fp8_f32 v53, v70, v71 op_sel:[0,0,1]              // 0000000084B4: D2A24035 00028F46
	v_cvt_pk_fp8_f32 v54, v72, v73                             // 0000000084BC: D2A20036 00029348
	v_cvt_pk_fp8_f32 v54, v74, v75 op_sel:[0,0,1]              // 0000000084C4: D2A24036 0002974A
	v_cvt_pk_fp8_f32 v55, v76, v77                             // 0000000084CC: D2A20037 00029B4C
	v_cvt_pk_fp8_f32 v55, v78, v79 op_sel:[0,0,1]              // 0000000084D4: D2A24037 00029F4E
	v_mov_b32_e32 v21, v20                                     // 0000000084DC: 7E2A0314
	v_mul_f32_e32 v112, v20, v112                              // 0000000084E0: 0AE0E114
	v_mul_f32_e32 v113, v20, v113                              // 0000000084E4: 0AE2E314
	v_pk_mul_f32 v[114:115], v[20:21], v[114:115]              // 0000000084E8: D3B14072 1802E514
	v_pk_mul_f32 v[116:117], v[20:21], v[116:117]              // 0000000084F0: D3B14074 1802E914
	v_pk_mul_f32 v[118:119], v[20:21], v[118:119]              // 0000000084F8: D3B14076 1802ED14
	v_pk_mul_f32 v[120:121], v[20:21], v[120:121]              // 000000008500: D3B14078 1802F114
	v_pk_mul_f32 v[122:123], v[20:21], v[122:123]              // 000000008508: D3B1407A 1802F514
	v_pk_mul_f32 v[124:125], v[20:21], v[124:125]              // 000000008510: D3B1407C 1802F914
	v_pk_mul_f32 v[126:127], v[20:21], v[126:127]              // 000000008518: D3B1407E 1802FD14
	v_pk_mul_f32 v[128:129], v[20:21], v[128:129]              // 000000008520: D3B14080 18030114
	v_pk_mul_f32 v[130:131], v[20:21], v[130:131]              // 000000008528: D3B14082 18030514
	v_pk_mul_f32 v[132:133], v[20:21], v[132:133]              // 000000008530: D3B14084 18030914
	v_pk_mul_f32 v[134:135], v[20:21], v[134:135]              // 000000008538: D3B14086 18030D14
	v_pk_mul_f32 v[136:137], v[20:21], v[136:137]              // 000000008540: D3B14088 18031114
	v_pk_mul_f32 v[138:139], v[20:21], v[138:139]              // 000000008548: D3B1408A 18031514
	v_pk_mul_f32 v[140:141], v[20:21], v[140:141]              // 000000008550: D3B1408C 18031914
	v_pk_mul_f32 v[142:143], v[20:21], v[142:143]              // 000000008558: D3B1408E 18031D14
	v_pk_mul_f32 v[144:145], v[20:21], v[144:145]              // 000000008560: D3B14090 18032114
	v_pk_mul_f32 v[146:147], v[20:21], v[146:147]              // 000000008568: D3B14092 18032514
	v_pk_mul_f32 v[148:149], v[20:21], v[148:149]              // 000000008570: D3B14094 18032914
	v_pk_mul_f32 v[150:151], v[20:21], v[150:151]              // 000000008578: D3B14096 18032D14
	v_pk_mul_f32 v[152:153], v[20:21], v[152:153]              // 000000008580: D3B14098 18033114
	v_pk_mul_f32 v[154:155], v[20:21], v[154:155]              // 000000008588: D3B1409A 18033514
	v_pk_mul_f32 v[156:157], v[20:21], v[156:157]              // 000000008590: D3B1409C 18033914
	v_pk_mul_f32 v[158:159], v[20:21], v[158:159]              // 000000008598: D3B1409E 18033D14
	v_pk_mul_f32 v[160:161], v[20:21], v[160:161]              // 0000000085A0: D3B140A0 18034114
	v_pk_mul_f32 v[162:163], v[20:21], v[162:163]              // 0000000085A8: D3B140A2 18034514
	v_pk_mul_f32 v[164:165], v[20:21], v[164:165]              // 0000000085B0: D3B140A4 18034914
	v_pk_mul_f32 v[166:167], v[20:21], v[166:167]              // 0000000085B8: D3B140A6 18034D14
	v_pk_mul_f32 v[168:169], v[20:21], v[168:169]              // 0000000085C0: D3B140A8 18035114
	v_pk_mul_f32 v[170:171], v[20:21], v[170:171]              // 0000000085C8: D3B140AA 18035514
	v_pk_mul_f32 v[172:173], v[20:21], v[172:173]              // 0000000085D0: D3B140AC 18035914
	v_pk_mul_f32 v[174:175], v[20:21], v[174:175]              // 0000000085D8: D3B140AE 18035D14
	s_waitcnt lgkmcnt(0)                                       // 0000000085E0: BF8CC07F
	s_nop 0                                                    // 0000000085E4: BF800000
	v_mfma_f32_32x32x16_fp8_fp8 v[112:127], v[192:193], v[48:49], v[112:127]// 0000000085E8: D3F70070 05C261C0
	v_mfma_f32_32x32x16_fp8_fp8 v[112:127], v[194:195], v[50:51], v[112:127]// 0000000085F0: D3F70070 05C265C2
	v_mfma_f32_32x32x16_fp8_fp8 v[112:127], v[196:197], v[52:53], v[112:127]// 0000000085F8: D3F70070 05C269C4
	v_mfma_f32_32x32x16_fp8_fp8 v[112:127], v[198:199], v[54:55], v[112:127]// 000000008600: D3F70070 05C26DC6
	v_mfma_f32_32x32x16_fp8_fp8 v[128:143], v[200:201], v[48:49], v[128:143]// 000000008608: D3F70080 060261C8
	v_mfma_f32_32x32x16_fp8_fp8 v[128:143], v[202:203], v[50:51], v[128:143]// 000000008610: D3F70080 060265CA
	v_mfma_f32_32x32x16_fp8_fp8 v[128:143], v[204:205], v[52:53], v[128:143]// 000000008618: D3F70080 060269CC
	v_mfma_f32_32x32x16_fp8_fp8 v[128:143], v[206:207], v[54:55], v[128:143]// 000000008620: D3F70080 06026DCE
	v_mfma_f32_32x32x16_fp8_fp8 v[144:159], v[208:209], v[48:49], v[144:159]// 000000008628: D3F70090 064261D0
	v_mfma_f32_32x32x16_fp8_fp8 v[144:159], v[210:211], v[50:51], v[144:159]// 000000008630: D3F70090 064265D2
	v_mfma_f32_32x32x16_fp8_fp8 v[144:159], v[212:213], v[52:53], v[144:159]// 000000008638: D3F70090 064269D4
	v_mfma_f32_32x32x16_fp8_fp8 v[144:159], v[214:215], v[54:55], v[144:159]// 000000008640: D3F70090 06426DD6
	v_mfma_f32_32x32x16_fp8_fp8 v[160:175], v[216:217], v[48:49], v[160:175]// 000000008648: D3F700A0 068261D8
	v_mfma_f32_32x32x16_fp8_fp8 v[160:175], v[218:219], v[50:51], v[160:175]// 000000008650: D3F700A0 068265DA
	v_mfma_f32_32x32x16_fp8_fp8 v[160:175], v[220:221], v[52:53], v[160:175]// 000000008658: D3F700A0 068269DC
	v_mfma_f32_32x32x16_fp8_fp8 v[160:175], v[222:223], v[54:55], v[160:175]// 000000008660: D3F700A0 06826DDE

0000000000008668 <label_12DA>:
	s_nop 0                                                    // 000000008668: BF800000
	v_cvt_f32_u32_e32 v16, s41                                 // 00000000866C: 7E200C29
	s_sub_i32 s34, 0, s41                                      // 000000008670: 81A22980
	v_rcp_iflag_f32_e32 v16, v16                               // 000000008674: 7E204710
	s_nop 0                                                    // 000000008678: BF800000
	v_mul_f32_e32 v16, 0x4f7ffffe, v16                         // 00000000867C: 0A2020FF 4F7FFFFE
	v_cvt_u32_f32_e32 v16, v16                                 // 000000008684: 7E200F10
	v_mul_lo_u32 v17, s34, v16                                 // 000000008688: D2850011 00022022
	v_mul_hi_u32 v17, v16, v17                                 // 000000008690: D2860011 00022310
	v_add_u32_e32 v16, v16, v17                                // 000000008698: 68202310
	v_mul_hi_u32 v16, s42, v16                                 // 00000000869C: D2860010 0002202A
	v_mul_lo_u32 v17, v16, s41                                 // 0000000086A4: D2850011 00005310
	v_sub_u32_e32 v19, s42, v17                                // 0000000086AC: 6A26222A
	v_add_u32_e32 v18, 1, v16                                  // 0000000086B0: 68242081
	v_cmp_le_u32_e32 vcc, s41, v19                             // 0000000086B4: 7D962629
	v_subrev_u32_e32 v17, s41, v19                             // 0000000086B8: 6C222629
	s_nop 0                                                    // 0000000086BC: BF800000
	v_cndmask_b32_e32 v16, v16, v18, vcc                       // 0000000086C0: 00202510
	v_cndmask_b32_e32 v19, v19, v17, vcc                       // 0000000086C4: 00262313
	v_add_u32_e32 v17, 1, v16                                  // 0000000086C8: 68222081
	v_cmp_le_u32_e32 vcc, s41, v19                             // 0000000086CC: 7D962629
	s_nop 1                                                    // 0000000086D0: BF800001
	v_cndmask_b32_e32 v19, v16, v17, vcc                       // 0000000086D4: 00262310
	s_nop 3                                                    // 0000000086D8: BF800003
	v_readfirstlane_b32 s42, v19                               // 0000000086DC: 7E540513
	s_nop 3                                                    // 0000000086E0: BF800003
	s_mul_i32 s42, s42, s44                                    // 0000000086E4: 922A2C2A
	v_lshrrev_b32_e32 v16, 3, v0                               // 0000000086E8: 20200083
	v_mul_i32_i24_e32 v8, s44, v16                             // 0000000086EC: 0C10202C
	v_and_b32_e32 v16, 7, v0                                   // 0000000086F0: 26200087
	v_mul_i32_i24_e32 v16, 16, v16                             // 0000000086F4: 0C202090
	v_add_u32_e32 v8, v16, v8                                  // 0000000086F8: 68101110
	s_mul_i32 s34, s5, s44                                     // 0000000086FC: 92222C05
	s_mul_i32 s34, s34, 32                                     // 000000008700: 9222A022
	s_add_u32 s34, s42, s34                                    // 000000008704: 8022222A
	v_add_u32_e32 v8, s34, v8                                  // 000000008708: 68101022
	s_mul_i32 s34, s44, 8                                      // 00000000870C: 9222882C
	v_add_u32_e32 v9, s34, v8                                  // 000000008710: 68121022
	v_add_u32_e32 v10, s34, v9                                 // 000000008714: 68141222
	v_add_u32_e32 v11, s34, v10                                // 000000008718: 68161422
	s_mul_i32 s34, s4, 0x100                                   // 00000000871C: 9222FF04 00000100
	v_and_b32_e32 v3, 31, v0                                   // 000000008724: 2606009F
	v_add_u32_e32 v3, s34, v3                                  // 000000008728: 68060622
	s_mul_i32 s34, s5, 32                                      // 00000000872C: 9222A005
	v_add_u32_e32 v3, s34, v3                                  // 000000008730: 68060622
	v_lshlrev_b32_e32 v3, 2, v3                                // 000000008734: 24060682
	ds_permute_b32 v16, v32, v22                               // 000000008738: D87C0000 10001620
	s_waitcnt lgkmcnt(0)                                       // 000000008740: BF8CC07F
	v_add_f32_e32 v22, v16, v22                                // 000000008744: 022C2D10
	v_mul_f32_e64 v16, v28, s28                                // 000000008748: D1050010 0000391C
	v_log_f32_e32 v17, v22                                     // 000000008750: 7E224316
	v_cmp_eq_f32_e64 s[34:35], v22, 0                          // 000000008754: D0420022 00010116
	s_nop 1                                                    // 00000000875C: BF800001
	v_rcp_f32_e32 v22, v22                                     // 000000008760: 7E2C4516
	s_nop 1                                                    // 000000008764: BF800001
	v_cndmask_b32_e64 v22, v22, 0, s[34:35]                    // 000000008768: D1000016 00890116
	v_fma_f32 v2, v17, s66, v16                                // 000000008770: D1CB0002 04408511
	v_mul_f32_e32 v22, s39, v22                                // 000000008778: 0A2C2C27
	v_mov_b32_e32 v23, v22                                     // 00000000877C: 7E2E0316
	v_lshrrev_b32_e32 v16, 5, v0                               // 000000008780: 20200085
	v_mul_i32_i24_e32 v35, 0x42, v16                           // 000000008784: 0C4620FF 00000042
	v_and_b32_e32 v16, 31, v0                                  // 00000000878C: 2620009F
	v_mul_i32_i24_e32 v16, 2, v16                              // 000000008790: 0C202082
	v_add_u32_e32 v35, v16, v35                                // 000000008794: 68464710
	s_mul_i32 s34, s5, 0x420                                   // 000000008798: 9222FF05 00000420
	v_add_u32_e32 v35, s34, v35                                // 0000000087A0: 68464622
	v_lshlrev_b32_e32 v35, 2, v35                              // 0000000087A4: 24464682
	v_lshrrev_b32_e32 v16, 3, v0                               // 0000000087A8: 20200083
	v_mul_i32_i24_e32 v34, 2, v16                              // 0000000087AC: 0C442082
	v_and_b32_e32 v16, 7, v0                                   // 0000000087B0: 26200087
	v_mul_i32_i24_e32 v16, 0x84, v16                           // 0000000087B4: 0C2020FF 00000084
	v_add_u32_e32 v34, v16, v34                                // 0000000087BC: 68444510
	s_mul_i32 s34, s5, 0x420                                   // 0000000087C0: 9222FF05 00000420
	v_add_u32_e32 v34, s34, v34                                // 0000000087C8: 68444422
	v_lshlrev_b32_e32 v34, 2, v34                              // 0000000087CC: 24444482
	s_waitcnt vmcnt(0) expcnt(0) lgkmcnt(0)                    // 0000000087D0: BF8C0000
	s_barrier                                                  // 0000000087D4: BF8A0000
	v_pk_mul_f32 v[112:113], v[22:23], v[112:113]              // 0000000087D8: D3B14070 1802E116
	v_pk_mul_f32 v[114:115], v[22:23], v[114:115]              // 0000000087E0: D3B14072 1802E516
	v_pk_mul_f32 v[116:117], v[22:23], v[116:117]              // 0000000087E8: D3B14074 1802E916
	v_pk_mul_f32 v[118:119], v[22:23], v[118:119]              // 0000000087F0: D3B14076 1802ED16
	v_pk_mul_f32 v[120:121], v[22:23], v[120:121]              // 0000000087F8: D3B14078 1802F116
	v_pk_mul_f32 v[122:123], v[22:23], v[122:123]              // 000000008800: D3B1407A 1802F516
	v_pk_mul_f32 v[124:125], v[22:23], v[124:125]              // 000000008808: D3B1407C 1802F916
	v_pk_mul_f32 v[126:127], v[22:23], v[126:127]              // 000000008810: D3B1407E 1802FD16
	v_pk_mul_f32 v[128:129], v[22:23], v[128:129]              // 000000008818: D3B14080 18030116
	v_pk_mul_f32 v[130:131], v[22:23], v[130:131]              // 000000008820: D3B14082 18030516
	v_pk_mul_f32 v[132:133], v[22:23], v[132:133]              // 000000008828: D3B14084 18030916
	v_pk_mul_f32 v[134:135], v[22:23], v[134:135]              // 000000008830: D3B14086 18030D16
	v_pk_mul_f32 v[136:137], v[22:23], v[136:137]              // 000000008838: D3B14088 18031116
	v_pk_mul_f32 v[138:139], v[22:23], v[138:139]              // 000000008840: D3B1408A 18031516
	v_pk_mul_f32 v[140:141], v[22:23], v[140:141]              // 000000008848: D3B1408C 18031916
	v_pk_mul_f32 v[142:143], v[22:23], v[142:143]              // 000000008850: D3B1408E 18031D16
	v_cmp_u_f32_e64 s[58:59], v112, v112                       // 000000008858: D048003A 0002E170
	v_add3_u32 v40, v112, v43, 1                               // 000000008860: D1FF0028 02065770
	v_cndmask_b32_e64 v16, v40, v42, s[58:59]                  // 000000008868: D1000010 00EA5528
	v_cmp_u_f32_e64 s[58:59], v113, v113                       // 000000008870: D048003A 0002E371
	v_add3_u32 v40, v113, v43, 1                               // 000000008878: D1FF0028 02065771
	v_cndmask_b32_e64 v17, v40, v42, s[58:59]                  // 000000008880: D1000011 00EA5528
	v_perm_b32 v112, v17, v16, s67                             // 000000008888: D1ED0070 010E2111
	v_cmp_u_f32_e64 s[58:59], v114, v114                       // 000000008890: D048003A 0002E572
	v_add3_u32 v40, v114, v43, 1                               // 000000008898: D1FF0028 02065772
	v_cndmask_b32_e64 v16, v40, v42, s[58:59]                  // 0000000088A0: D1000010 00EA5528
	v_cmp_u_f32_e64 s[58:59], v115, v115                       // 0000000088A8: D048003A 0002E773
	v_add3_u32 v40, v115, v43, 1                               // 0000000088B0: D1FF0028 02065773
	v_cndmask_b32_e64 v17, v40, v42, s[58:59]                  // 0000000088B8: D1000011 00EA5528
	v_perm_b32 v113, v17, v16, s67                             // 0000000088C0: D1ED0071 010E2111
	v_cmp_u_f32_e64 s[58:59], v116, v116                       // 0000000088C8: D048003A 0002E974
	v_add3_u32 v40, v116, v43, 1                               // 0000000088D0: D1FF0028 02065774
	v_cndmask_b32_e64 v16, v40, v42, s[58:59]                  // 0000000088D8: D1000010 00EA5528
	v_cmp_u_f32_e64 s[58:59], v117, v117                       // 0000000088E0: D048003A 0002EB75
	v_add3_u32 v40, v117, v43, 1                               // 0000000088E8: D1FF0028 02065775
	v_cndmask_b32_e64 v17, v40, v42, s[58:59]                  // 0000000088F0: D1000011 00EA5528
	v_perm_b32 v114, v17, v16, s67                             // 0000000088F8: D1ED0072 010E2111
	v_cmp_u_f32_e64 s[58:59], v118, v118                       // 000000008900: D048003A 0002ED76
	v_add3_u32 v40, v118, v43, 1                               // 000000008908: D1FF0028 02065776
	v_cndmask_b32_e64 v16, v40, v42, s[58:59]                  // 000000008910: D1000010 00EA5528
	v_cmp_u_f32_e64 s[58:59], v119, v119                       // 000000008918: D048003A 0002EF77
	v_add3_u32 v40, v119, v43, 1                               // 000000008920: D1FF0028 02065777
	v_cndmask_b32_e64 v17, v40, v42, s[58:59]                  // 000000008928: D1000011 00EA5528
	v_perm_b32 v115, v17, v16, s67                             // 000000008930: D1ED0073 010E2111
	v_cmp_u_f32_e64 s[58:59], v120, v120                       // 000000008938: D048003A 0002F178
	v_add3_u32 v40, v120, v43, 1                               // 000000008940: D1FF0028 02065778
	v_cndmask_b32_e64 v16, v40, v42, s[58:59]                  // 000000008948: D1000010 00EA5528
	v_cmp_u_f32_e64 s[58:59], v121, v121                       // 000000008950: D048003A 0002F379
	v_add3_u32 v40, v121, v43, 1                               // 000000008958: D1FF0028 02065779
	v_cndmask_b32_e64 v17, v40, v42, s[58:59]                  // 000000008960: D1000011 00EA5528
	v_perm_b32 v116, v17, v16, s67                             // 000000008968: D1ED0074 010E2111
	v_cmp_u_f32_e64 s[58:59], v122, v122                       // 000000008970: D048003A 0002F57A
	v_add3_u32 v40, v122, v43, 1                               // 000000008978: D1FF0028 0206577A
	v_cndmask_b32_e64 v16, v40, v42, s[58:59]                  // 000000008980: D1000010 00EA5528
	v_cmp_u_f32_e64 s[58:59], v123, v123                       // 000000008988: D048003A 0002F77B
	v_add3_u32 v40, v123, v43, 1                               // 000000008990: D1FF0028 0206577B
	v_cndmask_b32_e64 v17, v40, v42, s[58:59]                  // 000000008998: D1000011 00EA5528
	v_perm_b32 v117, v17, v16, s67                             // 0000000089A0: D1ED0075 010E2111
	v_cmp_u_f32_e64 s[58:59], v124, v124                       // 0000000089A8: D048003A 0002F97C
	v_add3_u32 v40, v124, v43, 1                               // 0000000089B0: D1FF0028 0206577C
	v_cndmask_b32_e64 v16, v40, v42, s[58:59]                  // 0000000089B8: D1000010 00EA5528
	v_cmp_u_f32_e64 s[58:59], v125, v125                       // 0000000089C0: D048003A 0002FB7D
	v_add3_u32 v40, v125, v43, 1                               // 0000000089C8: D1FF0028 0206577D
	v_cndmask_b32_e64 v17, v40, v42, s[58:59]                  // 0000000089D0: D1000011 00EA5528
	v_perm_b32 v118, v17, v16, s67                             // 0000000089D8: D1ED0076 010E2111
	v_cmp_u_f32_e64 s[58:59], v126, v126                       // 0000000089E0: D048003A 0002FD7E
	v_add3_u32 v40, v126, v43, 1                               // 0000000089E8: D1FF0028 0206577E
	v_cndmask_b32_e64 v16, v40, v42, s[58:59]                  // 0000000089F0: D1000010 00EA5528
	v_cmp_u_f32_e64 s[58:59], v127, v127                       // 0000000089F8: D048003A 0002FF7F
	v_add3_u32 v40, v127, v43, 1                               // 000000008A00: D1FF0028 0206577F
	v_cndmask_b32_e64 v17, v40, v42, s[58:59]                  // 000000008A08: D1000011 00EA5528
	v_perm_b32 v119, v17, v16, s67                             // 000000008A10: D1ED0077 010E2111
	v_cmp_u_f32_e64 s[58:59], v128, v128                       // 000000008A18: D048003A 00030180
	v_add3_u32 v40, v128, v43, 1                               // 000000008A20: D1FF0028 02065780
	v_cndmask_b32_e64 v16, v40, v42, s[58:59]                  // 000000008A28: D1000010 00EA5528
	v_cmp_u_f32_e64 s[58:59], v129, v129                       // 000000008A30: D048003A 00030381
	v_add3_u32 v40, v129, v43, 1                               // 000000008A38: D1FF0028 02065781
	v_cndmask_b32_e64 v17, v40, v42, s[58:59]                  // 000000008A40: D1000011 00EA5528
	v_perm_b32 v120, v17, v16, s67                             // 000000008A48: D1ED0078 010E2111
	v_cmp_u_f32_e64 s[58:59], v130, v130                       // 000000008A50: D048003A 00030582
	v_add3_u32 v40, v130, v43, 1                               // 000000008A58: D1FF0028 02065782
	v_cndmask_b32_e64 v16, v40, v42, s[58:59]                  // 000000008A60: D1000010 00EA5528
	v_cmp_u_f32_e64 s[58:59], v131, v131                       // 000000008A68: D048003A 00030783
	v_add3_u32 v40, v131, v43, 1                               // 000000008A70: D1FF0028 02065783
	v_cndmask_b32_e64 v17, v40, v42, s[58:59]                  // 000000008A78: D1000011 00EA5528
	v_perm_b32 v121, v17, v16, s67                             // 000000008A80: D1ED0079 010E2111
	v_cmp_u_f32_e64 s[58:59], v132, v132                       // 000000008A88: D048003A 00030984
	v_add3_u32 v40, v132, v43, 1                               // 000000008A90: D1FF0028 02065784
	v_cndmask_b32_e64 v16, v40, v42, s[58:59]                  // 000000008A98: D1000010 00EA5528
	v_cmp_u_f32_e64 s[58:59], v133, v133                       // 000000008AA0: D048003A 00030B85
	v_add3_u32 v40, v133, v43, 1                               // 000000008AA8: D1FF0028 02065785
	v_cndmask_b32_e64 v17, v40, v42, s[58:59]                  // 000000008AB0: D1000011 00EA5528
	v_perm_b32 v122, v17, v16, s67                             // 000000008AB8: D1ED007A 010E2111
	v_cmp_u_f32_e64 s[58:59], v134, v134                       // 000000008AC0: D048003A 00030D86
	v_add3_u32 v40, v134, v43, 1                               // 000000008AC8: D1FF0028 02065786
	v_cndmask_b32_e64 v16, v40, v42, s[58:59]                  // 000000008AD0: D1000010 00EA5528
	v_cmp_u_f32_e64 s[58:59], v135, v135                       // 000000008AD8: D048003A 00030F87
	v_add3_u32 v40, v135, v43, 1                               // 000000008AE0: D1FF0028 02065787
	v_cndmask_b32_e64 v17, v40, v42, s[58:59]                  // 000000008AE8: D1000011 00EA5528
	v_perm_b32 v123, v17, v16, s67                             // 000000008AF0: D1ED007B 010E2111
	v_cmp_u_f32_e64 s[58:59], v136, v136                       // 000000008AF8: D048003A 00031188
	v_add3_u32 v40, v136, v43, 1                               // 000000008B00: D1FF0028 02065788
	v_cndmask_b32_e64 v16, v40, v42, s[58:59]                  // 000000008B08: D1000010 00EA5528
	v_cmp_u_f32_e64 s[58:59], v137, v137                       // 000000008B10: D048003A 00031389
	v_add3_u32 v40, v137, v43, 1                               // 000000008B18: D1FF0028 02065789
	v_cndmask_b32_e64 v17, v40, v42, s[58:59]                  // 000000008B20: D1000011 00EA5528
	v_perm_b32 v124, v17, v16, s67                             // 000000008B28: D1ED007C 010E2111
	v_cmp_u_f32_e64 s[58:59], v138, v138                       // 000000008B30: D048003A 0003158A
	v_add3_u32 v40, v138, v43, 1                               // 000000008B38: D1FF0028 0206578A
	v_cndmask_b32_e64 v16, v40, v42, s[58:59]                  // 000000008B40: D1000010 00EA5528
	v_cmp_u_f32_e64 s[58:59], v139, v139                       // 000000008B48: D048003A 0003178B
	v_add3_u32 v40, v139, v43, 1                               // 000000008B50: D1FF0028 0206578B
	v_cndmask_b32_e64 v17, v40, v42, s[58:59]                  // 000000008B58: D1000011 00EA5528
	v_perm_b32 v125, v17, v16, s67                             // 000000008B60: D1ED007D 010E2111
	v_cmp_u_f32_e64 s[58:59], v140, v140                       // 000000008B68: D048003A 0003198C
	v_add3_u32 v40, v140, v43, 1                               // 000000008B70: D1FF0028 0206578C
	v_cndmask_b32_e64 v16, v40, v42, s[58:59]                  // 000000008B78: D1000010 00EA5528
	v_cmp_u_f32_e64 s[58:59], v141, v141                       // 000000008B80: D048003A 00031B8D
	v_add3_u32 v40, v141, v43, 1                               // 000000008B88: D1FF0028 0206578D
	v_cndmask_b32_e64 v17, v40, v42, s[58:59]                  // 000000008B90: D1000011 00EA5528
	v_perm_b32 v126, v17, v16, s67                             // 000000008B98: D1ED007E 010E2111
	v_cmp_u_f32_e64 s[58:59], v142, v142                       // 000000008BA0: D048003A 00031D8E
	v_add3_u32 v40, v142, v43, 1                               // 000000008BA8: D1FF0028 0206578E
	v_cndmask_b32_e64 v16, v40, v42, s[58:59]                  // 000000008BB0: D1000010 00EA5528
	v_cmp_u_f32_e64 s[58:59], v143, v143                       // 000000008BB8: D048003A 00031F8F
	v_add3_u32 v40, v143, v43, 1                               // 000000008BC0: D1FF0028 0206578F
	v_cndmask_b32_e64 v17, v40, v42, s[58:59]                  // 000000008BC8: D1000011 00EA5528
	v_perm_b32 v127, v17, v16, s67                             // 000000008BD0: D1ED007F 010E2111
	ds_write_b64 v35, v[112:113]                               // 000000008BD8: D89A0000 00007023
	ds_write_b64 v35, v[114:115] offset:528                    // 000000008BE0: D89A0210 00007223
	ds_write_b64 v35, v[116:117] offset:1056                   // 000000008BE8: D89A0420 00007423
	ds_write_b64 v35, v[118:119] offset:1584                   // 000000008BF0: D89A0630 00007623
	ds_write_b64 v35, v[120:121] offset:2112                   // 000000008BF8: D89A0840 00007823
	ds_write_b64 v35, v[122:123] offset:2640                   // 000000008C00: D89A0A50 00007A23
	ds_write_b64 v35, v[124:125] offset:3168                   // 000000008C08: D89A0C60 00007C23
	ds_write_b64 v35, v[126:127] offset:3696                   // 000000008C10: D89A0E70 00007E23
	s_waitcnt vmcnt(0) expcnt(0) lgkmcnt(0)                    // 000000008C18: BF8C0000
	ds_read_b64 v[112:113], v34                                // 000000008C1C: D8EC0000 70000022
	ds_read_b64 v[114:115], v34 offset:264                     // 000000008C24: D8EC0108 72000022
	ds_read_b64 v[116:117], v34 offset:64                      // 000000008C2C: D8EC0040 74000022
	ds_read_b64 v[118:119], v34 offset:328                     // 000000008C34: D8EC0148 76000022
	ds_read_b64 v[120:121], v34 offset:128                     // 000000008C3C: D8EC0080 78000022
	ds_read_b64 v[122:123], v34 offset:392                     // 000000008C44: D8EC0188 7A000022
	ds_read_b64 v[124:125], v34 offset:192                     // 000000008C4C: D8EC00C0 7C000022
	ds_read_b64 v[126:127], v34 offset:456                     // 000000008C54: D8EC01C8 7E000022
	s_waitcnt vmcnt(0) expcnt(0) lgkmcnt(0)                    // 000000008C5C: BF8C0000
	buffer_store_dwordx4 v[112:115], v8, s[20:23], 0 offen     // 000000008C60: E07C1000 80057008
	buffer_store_dwordx4 v[116:119], v9, s[20:23], 0 offen     // 000000008C68: E07C1000 80057409
	buffer_store_dwordx4 v[120:123], v10, s[20:23], 0 offen    // 000000008C70: E07C1000 8005780A
	buffer_store_dwordx4 v[124:127], v11, s[20:23], 0 offen    // 000000008C78: E07C1000 80057C0B
	v_pk_mul_f32 v[144:145], v[22:23], v[144:145]              // 000000008C80: D3B14090 18032116
	v_pk_mul_f32 v[146:147], v[22:23], v[146:147]              // 000000008C88: D3B14092 18032516
	v_pk_mul_f32 v[148:149], v[22:23], v[148:149]              // 000000008C90: D3B14094 18032916
	v_pk_mul_f32 v[150:151], v[22:23], v[150:151]              // 000000008C98: D3B14096 18032D16
	v_pk_mul_f32 v[152:153], v[22:23], v[152:153]              // 000000008CA0: D3B14098 18033116
	v_pk_mul_f32 v[154:155], v[22:23], v[154:155]              // 000000008CA8: D3B1409A 18033516
	v_pk_mul_f32 v[156:157], v[22:23], v[156:157]              // 000000008CB0: D3B1409C 18033916
	v_pk_mul_f32 v[158:159], v[22:23], v[158:159]              // 000000008CB8: D3B1409E 18033D16
	v_pk_mul_f32 v[160:161], v[22:23], v[160:161]              // 000000008CC0: D3B140A0 18034116
	v_pk_mul_f32 v[162:163], v[22:23], v[162:163]              // 000000008CC8: D3B140A2 18034516
	v_pk_mul_f32 v[164:165], v[22:23], v[164:165]              // 000000008CD0: D3B140A4 18034916
	v_pk_mul_f32 v[166:167], v[22:23], v[166:167]              // 000000008CD8: D3B140A6 18034D16
	v_pk_mul_f32 v[168:169], v[22:23], v[168:169]              // 000000008CE0: D3B140A8 18035116
	v_pk_mul_f32 v[170:171], v[22:23], v[170:171]              // 000000008CE8: D3B140AA 18035516
	v_pk_mul_f32 v[172:173], v[22:23], v[172:173]              // 000000008CF0: D3B140AC 18035916
	v_pk_mul_f32 v[174:175], v[22:23], v[174:175]              // 000000008CF8: D3B140AE 18035D16
	v_cmp_u_f32_e64 s[58:59], v144, v144                       // 000000008D00: D048003A 00032190
	v_add3_u32 v40, v144, v43, 1                               // 000000008D08: D1FF0028 02065790
	v_cndmask_b32_e64 v16, v40, v42, s[58:59]                  // 000000008D10: D1000010 00EA5528
	v_cmp_u_f32_e64 s[58:59], v145, v145                       // 000000008D18: D048003A 00032391
	v_add3_u32 v40, v145, v43, 1                               // 000000008D20: D1FF0028 02065791
	v_cndmask_b32_e64 v17, v40, v42, s[58:59]                  // 000000008D28: D1000011 00EA5528
	v_perm_b32 v144, v17, v16, s67                             // 000000008D30: D1ED0090 010E2111
	v_cmp_u_f32_e64 s[58:59], v146, v146                       // 000000008D38: D048003A 00032592
	v_add3_u32 v40, v146, v43, 1                               // 000000008D40: D1FF0028 02065792
	v_cndmask_b32_e64 v16, v40, v42, s[58:59]                  // 000000008D48: D1000010 00EA5528
	v_cmp_u_f32_e64 s[58:59], v147, v147                       // 000000008D50: D048003A 00032793
	v_add3_u32 v40, v147, v43, 1                               // 000000008D58: D1FF0028 02065793
	v_cndmask_b32_e64 v17, v40, v42, s[58:59]                  // 000000008D60: D1000011 00EA5528
	v_perm_b32 v145, v17, v16, s67                             // 000000008D68: D1ED0091 010E2111
	v_cmp_u_f32_e64 s[58:59], v148, v148                       // 000000008D70: D048003A 00032994
	v_add3_u32 v40, v148, v43, 1                               // 000000008D78: D1FF0028 02065794
	v_cndmask_b32_e64 v16, v40, v42, s[58:59]                  // 000000008D80: D1000010 00EA5528
	v_cmp_u_f32_e64 s[58:59], v149, v149                       // 000000008D88: D048003A 00032B95
	v_add3_u32 v40, v149, v43, 1                               // 000000008D90: D1FF0028 02065795
	v_cndmask_b32_e64 v17, v40, v42, s[58:59]                  // 000000008D98: D1000011 00EA5528
	v_perm_b32 v146, v17, v16, s67                             // 000000008DA0: D1ED0092 010E2111
	v_cmp_u_f32_e64 s[58:59], v150, v150                       // 000000008DA8: D048003A 00032D96
	v_add3_u32 v40, v150, v43, 1                               // 000000008DB0: D1FF0028 02065796
	v_cndmask_b32_e64 v16, v40, v42, s[58:59]                  // 000000008DB8: D1000010 00EA5528
	v_cmp_u_f32_e64 s[58:59], v151, v151                       // 000000008DC0: D048003A 00032F97
	v_add3_u32 v40, v151, v43, 1                               // 000000008DC8: D1FF0028 02065797
	v_cndmask_b32_e64 v17, v40, v42, s[58:59]                  // 000000008DD0: D1000011 00EA5528
	v_perm_b32 v147, v17, v16, s67                             // 000000008DD8: D1ED0093 010E2111
	v_cmp_u_f32_e64 s[58:59], v152, v152                       // 000000008DE0: D048003A 00033198
	v_add3_u32 v40, v152, v43, 1                               // 000000008DE8: D1FF0028 02065798
	v_cndmask_b32_e64 v16, v40, v42, s[58:59]                  // 000000008DF0: D1000010 00EA5528
	v_cmp_u_f32_e64 s[58:59], v153, v153                       // 000000008DF8: D048003A 00033399
	v_add3_u32 v40, v153, v43, 1                               // 000000008E00: D1FF0028 02065799
	v_cndmask_b32_e64 v17, v40, v42, s[58:59]                  // 000000008E08: D1000011 00EA5528
	v_perm_b32 v148, v17, v16, s67                             // 000000008E10: D1ED0094 010E2111
	v_cmp_u_f32_e64 s[58:59], v154, v154                       // 000000008E18: D048003A 0003359A
	v_add3_u32 v40, v154, v43, 1                               // 000000008E20: D1FF0028 0206579A
	v_cndmask_b32_e64 v16, v40, v42, s[58:59]                  // 000000008E28: D1000010 00EA5528
	v_cmp_u_f32_e64 s[58:59], v155, v155                       // 000000008E30: D048003A 0003379B
	v_add3_u32 v40, v155, v43, 1                               // 000000008E38: D1FF0028 0206579B
	v_cndmask_b32_e64 v17, v40, v42, s[58:59]                  // 000000008E40: D1000011 00EA5528
	v_perm_b32 v149, v17, v16, s67                             // 000000008E48: D1ED0095 010E2111
	v_cmp_u_f32_e64 s[58:59], v156, v156                       // 000000008E50: D048003A 0003399C
	v_add3_u32 v40, v156, v43, 1                               // 000000008E58: D1FF0028 0206579C
	v_cndmask_b32_e64 v16, v40, v42, s[58:59]                  // 000000008E60: D1000010 00EA5528
	v_cmp_u_f32_e64 s[58:59], v157, v157                       // 000000008E68: D048003A 00033B9D
	v_add3_u32 v40, v157, v43, 1                               // 000000008E70: D1FF0028 0206579D
	v_cndmask_b32_e64 v17, v40, v42, s[58:59]                  // 000000008E78: D1000011 00EA5528
	v_perm_b32 v150, v17, v16, s67                             // 000000008E80: D1ED0096 010E2111
	v_cmp_u_f32_e64 s[58:59], v158, v158                       // 000000008E88: D048003A 00033D9E
	v_add3_u32 v40, v158, v43, 1                               // 000000008E90: D1FF0028 0206579E
	v_cndmask_b32_e64 v16, v40, v42, s[58:59]                  // 000000008E98: D1000010 00EA5528
	v_cmp_u_f32_e64 s[58:59], v159, v159                       // 000000008EA0: D048003A 00033F9F
	v_add3_u32 v40, v159, v43, 1                               // 000000008EA8: D1FF0028 0206579F
	v_cndmask_b32_e64 v17, v40, v42, s[58:59]                  // 000000008EB0: D1000011 00EA5528
	v_perm_b32 v151, v17, v16, s67                             // 000000008EB8: D1ED0097 010E2111
	v_cmp_u_f32_e64 s[58:59], v160, v160                       // 000000008EC0: D048003A 000341A0
	v_add3_u32 v40, v160, v43, 1                               // 000000008EC8: D1FF0028 020657A0
	v_cndmask_b32_e64 v16, v40, v42, s[58:59]                  // 000000008ED0: D1000010 00EA5528
	v_cmp_u_f32_e64 s[58:59], v161, v161                       // 000000008ED8: D048003A 000343A1
	v_add3_u32 v40, v161, v43, 1                               // 000000008EE0: D1FF0028 020657A1
	v_cndmask_b32_e64 v17, v40, v42, s[58:59]                  // 000000008EE8: D1000011 00EA5528
	v_perm_b32 v152, v17, v16, s67                             // 000000008EF0: D1ED0098 010E2111
	v_cmp_u_f32_e64 s[58:59], v162, v162                       // 000000008EF8: D048003A 000345A2
	v_add3_u32 v40, v162, v43, 1                               // 000000008F00: D1FF0028 020657A2
	v_cndmask_b32_e64 v16, v40, v42, s[58:59]                  // 000000008F08: D1000010 00EA5528
	v_cmp_u_f32_e64 s[58:59], v163, v163                       // 000000008F10: D048003A 000347A3
	v_add3_u32 v40, v163, v43, 1                               // 000000008F18: D1FF0028 020657A3
	v_cndmask_b32_e64 v17, v40, v42, s[58:59]                  // 000000008F20: D1000011 00EA5528
	v_perm_b32 v153, v17, v16, s67                             // 000000008F28: D1ED0099 010E2111
	v_cmp_u_f32_e64 s[58:59], v164, v164                       // 000000008F30: D048003A 000349A4
	v_add3_u32 v40, v164, v43, 1                               // 000000008F38: D1FF0028 020657A4
	v_cndmask_b32_e64 v16, v40, v42, s[58:59]                  // 000000008F40: D1000010 00EA5528
	v_cmp_u_f32_e64 s[58:59], v165, v165                       // 000000008F48: D048003A 00034BA5
	v_add3_u32 v40, v165, v43, 1                               // 000000008F50: D1FF0028 020657A5
	v_cndmask_b32_e64 v17, v40, v42, s[58:59]                  // 000000008F58: D1000011 00EA5528
	v_perm_b32 v154, v17, v16, s67                             // 000000008F60: D1ED009A 010E2111
	v_cmp_u_f32_e64 s[58:59], v166, v166                       // 000000008F68: D048003A 00034DA6
	v_add3_u32 v40, v166, v43, 1                               // 000000008F70: D1FF0028 020657A6
	v_cndmask_b32_e64 v16, v40, v42, s[58:59]                  // 000000008F78: D1000010 00EA5528
	v_cmp_u_f32_e64 s[58:59], v167, v167                       // 000000008F80: D048003A 00034FA7
	v_add3_u32 v40, v167, v43, 1                               // 000000008F88: D1FF0028 020657A7
	v_cndmask_b32_e64 v17, v40, v42, s[58:59]                  // 000000008F90: D1000011 00EA5528
	v_perm_b32 v155, v17, v16, s67                             // 000000008F98: D1ED009B 010E2111
	v_cmp_u_f32_e64 s[58:59], v168, v168                       // 000000008FA0: D048003A 000351A8
	v_add3_u32 v40, v168, v43, 1                               // 000000008FA8: D1FF0028 020657A8
	v_cndmask_b32_e64 v16, v40, v42, s[58:59]                  // 000000008FB0: D1000010 00EA5528
	v_cmp_u_f32_e64 s[58:59], v169, v169                       // 000000008FB8: D048003A 000353A9
	v_add3_u32 v40, v169, v43, 1                               // 000000008FC0: D1FF0028 020657A9
	v_cndmask_b32_e64 v17, v40, v42, s[58:59]                  // 000000008FC8: D1000011 00EA5528
	v_perm_b32 v156, v17, v16, s67                             // 000000008FD0: D1ED009C 010E2111
	v_cmp_u_f32_e64 s[58:59], v170, v170                       // 000000008FD8: D048003A 000355AA
	v_add3_u32 v40, v170, v43, 1                               // 000000008FE0: D1FF0028 020657AA
	v_cndmask_b32_e64 v16, v40, v42, s[58:59]                  // 000000008FE8: D1000010 00EA5528
	v_cmp_u_f32_e64 s[58:59], v171, v171                       // 000000008FF0: D048003A 000357AB
	v_add3_u32 v40, v171, v43, 1                               // 000000008FF8: D1FF0028 020657AB
	v_cndmask_b32_e64 v17, v40, v42, s[58:59]                  // 000000009000: D1000011 00EA5528
	v_perm_b32 v157, v17, v16, s67                             // 000000009008: D1ED009D 010E2111
	v_cmp_u_f32_e64 s[58:59], v172, v172                       // 000000009010: D048003A 000359AC
	v_add3_u32 v40, v172, v43, 1                               // 000000009018: D1FF0028 020657AC
	v_cndmask_b32_e64 v16, v40, v42, s[58:59]                  // 000000009020: D1000010 00EA5528
	v_cmp_u_f32_e64 s[58:59], v173, v173                       // 000000009028: D048003A 00035BAD
	v_add3_u32 v40, v173, v43, 1                               // 000000009030: D1FF0028 020657AD
	v_cndmask_b32_e64 v17, v40, v42, s[58:59]                  // 000000009038: D1000011 00EA5528
	v_perm_b32 v158, v17, v16, s67                             // 000000009040: D1ED009E 010E2111
	v_cmp_u_f32_e64 s[58:59], v174, v174                       // 000000009048: D048003A 00035DAE
	v_add3_u32 v40, v174, v43, 1                               // 000000009050: D1FF0028 020657AE
	v_cndmask_b32_e64 v16, v40, v42, s[58:59]                  // 000000009058: D1000010 00EA5528
	v_cmp_u_f32_e64 s[58:59], v175, v175                       // 000000009060: D048003A 00035FAF
	v_add3_u32 v40, v175, v43, 1                               // 000000009068: D1FF0028 020657AF
	v_cndmask_b32_e64 v17, v40, v42, s[58:59]                  // 000000009070: D1000011 00EA5528
	v_perm_b32 v159, v17, v16, s67                             // 000000009078: D1ED009F 010E2111
	ds_write_b64 v35, v[144:145]                               // 000000009080: D89A0000 00009023
	ds_write_b64 v35, v[146:147] offset:528                    // 000000009088: D89A0210 00009223
	ds_write_b64 v35, v[148:149] offset:1056                   // 000000009090: D89A0420 00009423
	ds_write_b64 v35, v[150:151] offset:1584                   // 000000009098: D89A0630 00009623
	ds_write_b64 v35, v[152:153] offset:2112                   // 0000000090A0: D89A0840 00009823
	ds_write_b64 v35, v[154:155] offset:2640                   // 0000000090A8: D89A0A50 00009A23
	ds_write_b64 v35, v[156:157] offset:3168                   // 0000000090B0: D89A0C60 00009C23
	ds_write_b64 v35, v[158:159] offset:3696                   // 0000000090B8: D89A0E70 00009E23
	s_waitcnt vmcnt(0) expcnt(0) lgkmcnt(0)                    // 0000000090C0: BF8C0000
	ds_read_b64 v[144:145], v34                                // 0000000090C4: D8EC0000 90000022
	ds_read_b64 v[146:147], v34 offset:264                     // 0000000090CC: D8EC0108 92000022
	ds_read_b64 v[148:149], v34 offset:64                      // 0000000090D4: D8EC0040 94000022
	ds_read_b64 v[150:151], v34 offset:328                     // 0000000090DC: D8EC0148 96000022
	ds_read_b64 v[152:153], v34 offset:128                     // 0000000090E4: D8EC0080 98000022
	ds_read_b64 v[154:155], v34 offset:392                     // 0000000090EC: D8EC0188 9A000022
	ds_read_b64 v[156:157], v34 offset:192                     // 0000000090F4: D8EC00C0 9C000022
	ds_read_b64 v[158:159], v34 offset:456                     // 0000000090FC: D8EC01C8 9E000022
	s_waitcnt vmcnt(0) expcnt(0) lgkmcnt(0)                    // 000000009104: BF8C0000
	buffer_store_dwordx4 v[144:147], v8, s[20:23], 0 offen offset:128// 000000009108: E07C1080 80059008
	buffer_store_dwordx4 v[148:151], v9, s[20:23], 0 offen offset:128// 000000009110: E07C1080 80059409
	buffer_store_dwordx4 v[152:155], v10, s[20:23], 0 offen offset:128// 000000009118: E07C1080 8005980A
	buffer_store_dwordx4 v[156:159], v11, s[20:23], 0 offen offset:128// 000000009120: E07C1080 80059C0B
	s_cmp_eq_u32 s33, 0                                        // 000000009128: BF068021
	s_cbranch_scc1 label_1592                                  // 00000000912C: BF850006
	v_cmp_ge_f32_e64 s[34:35], v2, v31                         // 000000009130: D0460022 00023F02
	v_cndmask_b32_e64 v2, v31, v2, s[34:35]                    // 000000009138: D1000002 008A051F
	buffer_store_dword v2, v3, s[24:27], 0 offen               // 000000009140: E0701000 80060203

0000000000009148 <label_1592>:
	s_waitcnt vmcnt(0) expcnt(0) lgkmcnt(0)                    // 000000009148: BF8C0000
	s_barrier                                                  // 00000000914C: BF8A0000
	s_addk_i32 s60, 0x1                                        // 000000009150: B73C0001
	s_add_u32 s34, s29, 0xff                                   // 000000009154: 8022FF1D 000000FF
	s_lshr_b32 s34, s34, 8                                     // 00000000915C: 8F228822
	s_cmp_lt_u32 s34, 2                                        // 000000009160: BF0A8222
	s_cselect_b32 s60, 2, s60                                  // 000000009164: 853C3C82
	s_add_u32 s35, s29, 0xff                                   // 000000009168: 8023FF1D 000000FF
	s_lshr_b32 s34, s35, 8                                     // 000000009170: 8F228823
	s_sub_u32 s34, s34, 1                                      // 000000009174: 80A28122
	s_sub_u32 s4, s34, s4                                      // 000000009178: 80840422
	s_mul_i32 s64, 64, s40                                     // 00000000917C: 924028C0
	s_mul_i32 s65, 64, s43                                     // 000000009180: 92412BC0
	s_and_b32 s36, 1, s31                                      // 000000009184: 86241F81
	s_cmp_lt_i32 s36, 1                                        // 000000009188: BF048124
	s_cbranch_scc1 label_15B7                                  // 00000000918C: BF850013
	s_lshl_b32 s34, s4, 2                                      // 000000009190: 8E228204
	s_add_u32 s34, s34, 3                                      // 000000009194: 80228322
	s_sub_i32 s35, s7, s29                                     // 000000009198: 81A31D07
	s_addk_i32 s35, 0x3f                                       // 00000000919C: B723003F
	s_ashr_i32 s35, s35, 6                                     // 0000000091A0: 90238623
	s_add_i32 s34, s34, s35                                    // 0000000091A4: 81222322
	s_sub_u32 s35, s7, 1                                       // 0000000091A8: 80A38107
	s_lshr_b32 s35, s35, 6                                     // 0000000091AC: 8F238623
	s_cmp_lt_i32 s34, s35                                      // 0000000091B0: BF042322
	s_cselect_b32 s34, s34, s35                                // 0000000091B4: 85222322
	s_cmp_lt_i32 s34, 0                                        // 0000000091B8: BF048022
	s_cselect_b32 s34, 0, s34                                  // 0000000091BC: 85222280
	s_mul_i32 s57, s34, s64                                    // 0000000091C0: 92394022
	s_mul_i32 s32, s34, s65                                    // 0000000091C4: 92204122
	s_mul_i32 s72, s34, 64                                     // 0000000091C8: 9248C022
	s_sub_i32 s65, 0, s65                                      // 0000000091CC: 81C14180
	s_sub_i32 s64, 0, s64                                      // 0000000091D0: 81C04080
	s_sub_i32 s73, 0, s73                                      // 0000000091D4: 81C94980
	s_branch label_15BB                                        // 0000000091D8: BF820004

00000000000091dc <label_15B7>:
	s_mov_b32 s57, 0                                           // 0000000091DC: BEB90080
	s_mov_b32 s32, 0                                           // 0000000091E0: BEA00080
	s_mov_b32 s72, 0                                           // 0000000091E4: BEC80080
	s_mov_b32 s73, 64                                          // 0000000091E8: BEC900C0

00000000000091ec <label_15BB>:
	s_cmp_lt_i32 s60, 2                                        // 0000000091EC: BF04823C
	s_cbranch_scc1 label_0142                                  // 0000000091F0: BF85EB85

00000000000091f4 <label_15BD>:
	s_waitcnt vmcnt(0) expcnt(0) lgkmcnt(0)                    // 0000000091F4: BF8C0000
	s_endpgm                                                   // 0000000091F8: BF810000
